;; amdgpu-corpus repo=ROCm/rocFFT kind=compiled arch=gfx906 opt=O3
	.text
	.amdgcn_target "amdgcn-amd-amdhsa--gfx906"
	.amdhsa_code_object_version 6
	.protected	bluestein_single_back_len2002_dim1_half_op_CI_CI ; -- Begin function bluestein_single_back_len2002_dim1_half_op_CI_CI
	.globl	bluestein_single_back_len2002_dim1_half_op_CI_CI
	.p2align	8
	.type	bluestein_single_back_len2002_dim1_half_op_CI_CI,@function
bluestein_single_back_len2002_dim1_half_op_CI_CI: ; @bluestein_single_back_len2002_dim1_half_op_CI_CI
; %bb.0:
	s_load_dwordx4 s[12:15], s[4:5], 0x28
	v_mul_u32_u24_e32 v1, 0x169, v0
	v_add_u32_sdwa v30, s6, v1 dst_sel:DWORD dst_unused:UNUSED_PAD src0_sel:DWORD src1_sel:WORD_1
	v_mov_b32_e32 v31, 0
	s_waitcnt lgkmcnt(0)
	v_cmp_gt_u64_e32 vcc, s[12:13], v[30:31]
	s_and_saveexec_b64 s[0:1], vcc
	s_cbranch_execz .LBB0_31
; %bb.1:
	s_load_dwordx4 s[0:3], s[4:5], 0x18
	s_load_dwordx2 s[16:17], s[4:5], 0x0
	s_waitcnt lgkmcnt(0)
	s_load_dwordx4 s[8:11], s[0:1], 0x0
	s_movk_i32 s0, 0xb6
	v_mul_lo_u16_sdwa v1, v1, s0 dst_sel:DWORD dst_unused:UNUSED_PAD src0_sel:WORD_1 src1_sel:DWORD
	v_sub_u16_e32 v62, v0, v1
	v_lshlrev_b32_e32 v53, 2, v62
	s_waitcnt lgkmcnt(0)
	v_mad_u64_u32 v[0:1], s[0:1], s10, v30, 0
	v_mad_u64_u32 v[2:3], s[0:1], s8, v62, 0
	v_add_co_u32_e64 v28, s[6:7], s16, v53
	v_mad_u64_u32 v[4:5], s[0:1], s11, v30, v[1:2]
	global_load_dword v64, v53, s[16:17]
	v_mad_u64_u32 v[5:6], s[0:1], s9, v62, v[3:4]
	v_mov_b32_e32 v1, v4
	v_lshlrev_b64 v[0:1], 2, v[0:1]
	v_mov_b32_e32 v6, s15
	v_mov_b32_e32 v3, v5
	v_add_co_u32_e32 v4, vcc, s14, v0
	v_addc_co_u32_e32 v5, vcc, v6, v1, vcc
	v_lshlrev_b64 v[0:1], 2, v[2:3]
	s_mul_i32 s0, s9, 0x3e9
	s_mul_hi_u32 s1, s8, 0x3e9
	v_add_co_u32_e32 v0, vcc, v4, v0
	v_mov_b32_e32 v2, s17
	s_add_i32 s1, s1, s0
	s_mul_i32 s0, s8, 0x3e9
	v_addc_co_u32_e32 v1, vcc, v5, v1, vcc
	v_addc_co_u32_e64 v29, vcc, 0, v2, s[6:7]
	s_lshl_b64 s[14:15], s[0:1], 2
	v_mov_b32_e32 v4, s15
	v_add_co_u32_e32 v2, vcc, s14, v0
	v_addc_co_u32_e32 v3, vcc, v1, v4, vcc
	global_load_dword v5, v[0:1], off
	global_load_dword v6, v[2:3], off
	global_load_dword v63, v53, s[16:17] offset:4004
	s_mul_hi_u32 s1, s8, 0xfffffccd
	s_mul_i32 s0, s9, 0xfffffccd
	s_sub_i32 s1, s1, s8
	s_add_i32 s1, s1, s0
	s_mul_i32 s0, s8, 0xfffffccd
	s_lshl_b64 s[18:19], s[0:1], 2
	v_mov_b32_e32 v7, s19
	v_add_co_u32_e32 v0, vcc, s18, v2
	v_addc_co_u32_e32 v1, vcc, v3, v7, vcc
	global_load_dword v8, v[0:1], off
	global_load_dword v61, v53, s[16:17] offset:728
	v_add_co_u32_e32 v0, vcc, s14, v0
	v_addc_co_u32_e32 v1, vcc, v1, v4, vcc
	s_movk_i32 s0, 0x1000
	v_add_co_u32_e32 v2, vcc, s0, v28
	global_load_dword v9, v[0:1], off
	v_addc_co_u32_e32 v3, vcc, 0, v29, vcc
	global_load_dword v60, v[2:3], off offset:636
	v_add_co_u32_e32 v0, vcc, s18, v0
	v_addc_co_u32_e32 v1, vcc, v1, v7, vcc
	global_load_dword v10, v[0:1], off
	global_load_dword v59, v53, s[16:17] offset:1456
	v_add_co_u32_e32 v0, vcc, s14, v0
	v_addc_co_u32_e32 v1, vcc, v1, v4, vcc
	global_load_dword v11, v[0:1], off
	global_load_dword v58, v[2:3], off offset:1364
	v_add_co_u32_e32 v0, vcc, s18, v0
	v_addc_co_u32_e32 v1, vcc, v1, v7, vcc
	global_load_dword v12, v[0:1], off
	global_load_dword v57, v53, s[16:17] offset:2184
	v_add_co_u32_e32 v0, vcc, s14, v0
	v_addc_co_u32_e32 v1, vcc, v1, v4, vcc
	global_load_dword v13, v[0:1], off
	;; [unrolled: 8-line block ×3, first 2 shown]
	global_load_dword v54, v[2:3], off offset:2820
	s_load_dwordx2 s[12:13], s[4:5], 0x38
	s_load_dwordx4 s[8:11], s[2:3], 0x0
	s_movk_i32 s0, 0x5b
	v_cmp_gt_u16_e64 s[0:1], s0, v62
	s_waitcnt vmcnt(18)
	v_lshrrev_b32_e32 v2, 16, v5
	v_mul_f16_sdwa v3, v64, v2 dst_sel:DWORD dst_unused:UNUSED_PAD src0_sel:WORD_1 src1_sel:DWORD
	v_fma_f16 v3, v64, v5, v3
	v_mul_f16_sdwa v5, v64, v5 dst_sel:DWORD dst_unused:UNUSED_PAD src0_sel:WORD_1 src1_sel:DWORD
	v_fma_f16 v2, v64, v2, -v5
	v_pack_b32_f16 v2, v3, v2
	s_waitcnt vmcnt(17)
	v_lshrrev_b32_e32 v3, 16, v6
	s_waitcnt vmcnt(16)
	v_mul_f16_sdwa v5, v63, v3 dst_sel:DWORD dst_unused:UNUSED_PAD src0_sel:WORD_1 src1_sel:DWORD
	v_fma_f16 v5, v63, v6, v5
	v_mul_f16_sdwa v6, v63, v6 dst_sel:DWORD dst_unused:UNUSED_PAD src0_sel:WORD_1 src1_sel:DWORD
	v_fma_f16 v3, v63, v3, -v6
	v_pack_b32_f16 v3, v5, v3
	ds_write_b32 v53, v3 offset:4004
	s_waitcnt vmcnt(15)
	v_lshrrev_b32_e32 v3, 16, v8
	s_waitcnt vmcnt(14)
	v_mul_f16_sdwa v5, v61, v3 dst_sel:DWORD dst_unused:UNUSED_PAD src0_sel:WORD_1 src1_sel:DWORD
	v_mul_f16_sdwa v6, v61, v8 dst_sel:DWORD dst_unused:UNUSED_PAD src0_sel:WORD_1 src1_sel:DWORD
	v_fma_f16 v5, v61, v8, v5
	v_fma_f16 v3, v61, v3, -v6
	v_pack_b32_f16 v3, v5, v3
	ds_write2_b32 v53, v2, v3 offset1:182
	s_waitcnt vmcnt(13)
	v_lshrrev_b32_e32 v2, 16, v9
	s_waitcnt vmcnt(12)
	v_mul_f16_sdwa v3, v60, v2 dst_sel:DWORD dst_unused:UNUSED_PAD src0_sel:WORD_1 src1_sel:DWORD
	v_mul_f16_sdwa v5, v60, v9 dst_sel:DWORD dst_unused:UNUSED_PAD src0_sel:WORD_1 src1_sel:DWORD
	v_fma_f16 v3, v60, v9, v3
	v_fma_f16 v2, v60, v2, -v5
	v_pack_b32_f16 v2, v3, v2
	s_waitcnt vmcnt(11)
	v_lshrrev_b32_e32 v3, 16, v10
	s_waitcnt vmcnt(10)
	v_mul_f16_sdwa v5, v59, v3 dst_sel:DWORD dst_unused:UNUSED_PAD src0_sel:WORD_1 src1_sel:DWORD
	v_mul_f16_sdwa v6, v59, v10 dst_sel:DWORD dst_unused:UNUSED_PAD src0_sel:WORD_1 src1_sel:DWORD
	v_fma_f16 v5, v59, v10, v5
	v_fma_f16 v3, v59, v3, -v6
	v_pack_b32_f16 v3, v5, v3
	;; [unrolled: 8-line block ×3, first 2 shown]
	v_add_u32_e32 v6, 0x1200, v53
	ds_write2_b32 v6, v2, v5 offset0:31 offset1:213
	s_waitcnt vmcnt(7)
	v_lshrrev_b32_e32 v2, 16, v12
	s_waitcnt vmcnt(6)
	v_mul_f16_sdwa v5, v57, v2 dst_sel:DWORD dst_unused:UNUSED_PAD src0_sel:WORD_1 src1_sel:DWORD
	v_mul_f16_sdwa v6, v57, v12 dst_sel:DWORD dst_unused:UNUSED_PAD src0_sel:WORD_1 src1_sel:DWORD
	v_fma_f16 v5, v57, v12, v5
	v_fma_f16 v2, v57, v2, -v6
	v_pack_b32_f16 v2, v5, v2
	v_add_u32_e32 v6, 0x500, v53
	ds_write2_b32 v6, v3, v2 offset0:44 offset1:226
	s_waitcnt vmcnt(5)
	v_lshrrev_b32_e32 v2, 16, v13
	s_waitcnt vmcnt(4)
	v_mul_f16_sdwa v3, v56, v2 dst_sel:DWORD dst_unused:UNUSED_PAD src0_sel:WORD_1 src1_sel:DWORD
	v_mul_f16_sdwa v5, v56, v13 dst_sel:DWORD dst_unused:UNUSED_PAD src0_sel:WORD_1 src1_sel:DWORD
	v_fma_f16 v3, v56, v13, v3
	v_fma_f16 v2, v56, v2, -v5
	v_pack_b32_f16 v2, v3, v2
	s_waitcnt vmcnt(3)
	v_lshrrev_b32_e32 v3, 16, v7
	s_waitcnt vmcnt(2)
	v_mul_f16_sdwa v5, v55, v3 dst_sel:DWORD dst_unused:UNUSED_PAD src0_sel:WORD_1 src1_sel:DWORD
	v_fma_f16 v5, v55, v7, v5
	v_mul_f16_sdwa v7, v55, v7 dst_sel:DWORD dst_unused:UNUSED_PAD src0_sel:WORD_1 src1_sel:DWORD
	v_fma_f16 v3, v55, v3, -v7
	v_pack_b32_f16 v3, v5, v3
	ds_write_b32 v53, v3 offset:2912
	s_waitcnt vmcnt(1)
	v_lshrrev_b32_e32 v3, 16, v4
	s_waitcnt vmcnt(0)
	v_mul_f16_sdwa v5, v54, v3 dst_sel:DWORD dst_unused:UNUSED_PAD src0_sel:WORD_1 src1_sel:DWORD
	v_fma_f16 v5, v54, v4, v5
	v_mul_f16_sdwa v4, v54, v4 dst_sel:DWORD dst_unused:UNUSED_PAD src0_sel:WORD_1 src1_sel:DWORD
	v_fma_f16 v3, v54, v3, -v4
	v_pack_b32_f16 v3, v5, v3
	v_add_u32_e32 v4, 0x1800, v53
	ds_write2_b32 v4, v2, v3 offset0:11 offset1:193
	s_and_saveexec_b64 s[2:3], s[0:1]
	s_cbranch_execz .LBB0_3
; %bb.2:
	v_mov_b32_e32 v2, s19
	v_add_co_u32_e32 v0, vcc, s18, v0
	v_addc_co_u32_e32 v1, vcc, v1, v2, vcc
	global_load_dword v2, v[0:1], off
	global_load_dword v3, v[28:29], off offset:3640
	v_mov_b32_e32 v4, s15
	v_add_co_u32_e32 v0, vcc, s14, v0
	v_addc_co_u32_e32 v1, vcc, v1, v4, vcc
	global_load_dword v4, v[0:1], off
	v_add_co_u32_e32 v0, vcc, 0x1000, v28
	v_addc_co_u32_e32 v1, vcc, 0, v29, vcc
	global_load_dword v0, v[0:1], off offset:3548
	s_waitcnt vmcnt(3)
	v_lshrrev_b32_e32 v1, 16, v2
	s_waitcnt vmcnt(2)
	v_mul_f16_sdwa v5, v3, v2 dst_sel:DWORD dst_unused:UNUSED_PAD src0_sel:WORD_1 src1_sel:DWORD
	v_mul_f16_sdwa v7, v3, v1 dst_sel:DWORD dst_unused:UNUSED_PAD src0_sel:WORD_1 src1_sel:DWORD
	v_fma_f16 v1, v3, v1, -v5
	v_fma_f16 v2, v3, v2, v7
	v_pack_b32_f16 v1, v2, v1
	ds_write_b32 v53, v1 offset:3640
	s_waitcnt vmcnt(1)
	v_lshrrev_b32_e32 v5, 16, v4
	s_waitcnt vmcnt(0)
	v_mul_f16_sdwa v8, v0, v4 dst_sel:DWORD dst_unused:UNUSED_PAD src0_sel:WORD_1 src1_sel:DWORD
	v_mul_f16_sdwa v3, v0, v5 dst_sel:DWORD dst_unused:UNUSED_PAD src0_sel:WORD_1 src1_sel:DWORD
	v_fma_f16 v5, v0, v5, -v8
	v_fma_f16 v0, v0, v4, v3
	v_pack_b32_f16 v0, v0, v5
	ds_write_b32 v53, v0 offset:7644
.LBB0_3:
	s_or_b64 exec, exec, s[2:3]
	v_add_u32_e32 v0, 0xf00, v53
	s_waitcnt lgkmcnt(0)
	s_barrier
	ds_read2_b32 v[2:3], v53 offset1:182
	ds_read2_b32 v[4:5], v0 offset0:41 offset1:223
	ds_read2_b32 v[0:1], v6 offset0:44 offset1:226
	v_add_u32_e32 v6, 0x1500, v53
	ds_read2_b32 v[6:7], v6 offset0:21 offset1:203
	ds_read_b32 v8, v53 offset:2912
	ds_read_b32 v9, v53 offset:6916
                                        ; implicit-def: $vgpr10
                                        ; implicit-def: $vgpr11
	s_and_saveexec_b64 s[2:3], s[0:1]
	s_cbranch_execz .LBB0_5
; %bb.4:
	ds_read_b32 v10, v53 offset:3640
	ds_read_b32 v11, v53 offset:7644
.LBB0_5:
	s_or_b64 exec, exec, s[2:3]
	s_load_dwordx2 s[14:15], s[4:5], 0x8
	s_movk_i32 s2, 0x38e
	v_add_co_u32_e32 v24, vcc, 0xb6, v62
	v_lshlrev_b32_e32 v42, 3, v62
	v_add_co_u32_e32 v25, vcc, s2, v62
	s_waitcnt lgkmcnt(0)
	v_pk_add_f16 v13, v2, v4 neg_lo:[0,1] neg_hi:[0,1]
	v_pk_add_f16 v15, v3, v5 neg_lo:[0,1] neg_hi:[0,1]
	;; [unrolled: 1-line block ×6, first 2 shown]
	v_lshlrev_b16_e32 v4, 1, v62
	v_pk_fma_f16 v22, v10, 2.0, v23 op_sel_hi:[1,0,1] neg_lo:[0,0,1] neg_hi:[0,0,1]
	v_lshlrev_b32_e32 v43, 2, v4
	v_pk_fma_f16 v12, v2, 2.0, v13 op_sel_hi:[1,0,1] neg_lo:[0,0,1] neg_hi:[0,0,1]
	v_lshlrev_b32_e32 v45, 3, v24
	v_pk_fma_f16 v14, v3, 2.0, v15 op_sel_hi:[1,0,1] neg_lo:[0,0,1] neg_hi:[0,0,1]
	v_pk_fma_f16 v16, v0, 2.0, v17 op_sel_hi:[1,0,1] neg_lo:[0,0,1] neg_hi:[0,0,1]
	;; [unrolled: 1-line block ×3, first 2 shown]
	v_add_u32_e32 v0, 0xa00, v42
	v_pk_fma_f16 v20, v8, 2.0, v21 op_sel_hi:[1,0,1] neg_lo:[0,0,1] neg_hi:[0,0,1]
	v_lshlrev_b32_e32 v69, 3, v25
	s_barrier
	ds_write_b64 v43, v[12:13]
	ds_write_b64 v45, v[14:15]
	ds_write2_b64 v0, v[16:17], v[18:19] offset0:44 offset1:226
	ds_write_b64 v42, v[20:21] offset:5824
	s_and_saveexec_b64 s[2:3], s[0:1]
	s_cbranch_execz .LBB0_7
; %bb.6:
	ds_write_b64 v69, v[22:23]
.LBB0_7:
	s_or_b64 exec, exec, s[2:3]
	s_movk_i32 s2, 0x9a
	v_cmp_gt_u16_e64 s[2:3], s2, v62
	v_lshrrev_b32_e32 v26, 16, v14
	v_lshrrev_b32_e32 v27, 16, v16
	;; [unrolled: 1-line block ×5, first 2 shown]
	s_waitcnt lgkmcnt(0)
	s_barrier
	s_waitcnt lgkmcnt(0)
                                        ; implicit-def: $vgpr31
                                        ; implicit-def: $vgpr47
	s_and_saveexec_b64 s[4:5], s[2:3]
	s_cbranch_execz .LBB0_9
; %bb.8:
	v_add_u32_e32 v0, 0x400, v53
	ds_read2_b32 v[14:15], v0 offset0:52 offset1:206
	v_add_u32_e32 v0, 0x900, v53
	ds_read2_b32 v[16:17], v0 offset0:40 offset1:194
	;; [unrolled: 2-line block ×3, first 2 shown]
	v_add_u32_e32 v0, 0x1200, v53
	ds_read2_b32 v[12:13], v53 offset1:154
	ds_read2_b32 v[20:21], v0 offset0:80 offset1:234
	v_add_u32_e32 v0, 0x1800, v53
	ds_read_b32 v31, v53 offset:7392
	ds_read2_b32 v[22:23], v0 offset0:4 offset1:158
	s_waitcnt lgkmcnt(6)
	v_lshrrev_b32_e32 v26, 16, v14
	s_waitcnt lgkmcnt(3)
	v_lshrrev_b32_e32 v25, 16, v12
	v_lshrrev_b32_e32 v27, 16, v16
	;; [unrolled: 1-line block ×3, first 2 shown]
	s_waitcnt lgkmcnt(2)
	v_lshrrev_b32_e32 v46, 16, v20
	s_waitcnt lgkmcnt(1)
	v_lshrrev_b32_e32 v47, 16, v31
.LBB0_9:
	s_or_b64 exec, exec, s[4:5]
	v_and_b32_e32 v65, 1, v62
	v_mul_u32_u24_e32 v0, 12, v65
	v_lshlrev_b32_e32 v32, 2, v0
	global_load_dwordx4 v[0:3], v32, s[14:15]
	global_load_dwordx4 v[4:7], v32, s[14:15] offset:16
	global_load_dwordx4 v[8:11], v32, s[14:15] offset:32
	s_waitcnt lgkmcnt(0)
	v_lshrrev_b32_e32 v52, 16, v22
	v_lshrrev_b32_e32 v67, 16, v13
	;; [unrolled: 1-line block ×7, first 2 shown]
	s_movk_i32 s5, 0x3b15
	s_movk_i32 s4, 0x388b
	s_mov_b32 s16, 0xb5ac
	s_movk_i32 s18, 0x2fb7
	s_mov_b32 s20, 0xbbc4
	s_mov_b32 s19, 0xb9fd
	s_waitcnt vmcnt(0)
	s_barrier
	v_mul_f16_sdwa v81, v13, v0 dst_sel:DWORD dst_unused:UNUSED_PAD src0_sel:DWORD src1_sel:WORD_1
	v_mul_f16_sdwa v36, v44, v5 dst_sel:DWORD dst_unused:UNUSED_PAD src0_sel:DWORD src1_sel:WORD_1
	;; [unrolled: 1-line block ×16, first 2 shown]
	v_fma_f16 v36, v18, v5, -v36
	v_fma_f16 v40, v22, v9, -v40
	v_fma_f16 v18, v44, v5, v73
	v_fma_f16 v22, v46, v7, v75
	v_fma_f16 v44, v31, v11, -v79
	v_fma_f16 v31, v47, v11, v80
	v_fma_f16 v46, v67, v0, v81
	v_fma_f16 v13, v13, v0, -v82
	v_mul_f16_sdwa v33, v48, v2 dst_sel:DWORD dst_unused:UNUSED_PAD src0_sel:DWORD src1_sel:WORD_1
	v_mul_f16_sdwa v70, v15, v2 dst_sel:DWORD dst_unused:UNUSED_PAD src0_sel:DWORD src1_sel:WORD_1
	v_mul_f16_sdwa v39, v51, v8 dst_sel:DWORD dst_unused:UNUSED_PAD src0_sel:DWORD src1_sel:WORD_1
	v_mul_f16_sdwa v76, v21, v8 dst_sel:DWORD dst_unused:UNUSED_PAD src0_sel:DWORD src1_sel:WORD_1
	v_fma_f16 v32, v14, v1, -v32
	v_fma_f16 v34, v16, v3, -v34
	;; [unrolled: 1-line block ×4, first 2 shown]
	v_fma_f16 v14, v26, v1, v68
	v_fma_f16 v16, v27, v3, v71
	;; [unrolled: 1-line block ×3, first 2 shown]
	v_sub_f16_e32 v20, v46, v31
	v_sub_f16_e32 v47, v13, v44
	v_mul_f16_sdwa v35, v49, v4 dst_sel:DWORD dst_unused:UNUSED_PAD src0_sel:DWORD src1_sel:WORD_1
	v_mul_f16_sdwa v72, v17, v4 dst_sel:DWORD dst_unused:UNUSED_PAD src0_sel:DWORD src1_sel:WORD_1
	;; [unrolled: 1-line block ×4, first 2 shown]
	v_fma_f16 v33, v15, v2, -v33
	v_fma_f16 v39, v21, v8, -v39
	v_fma_f16 v15, v48, v2, v70
	v_fma_f16 v23, v51, v8, v76
	v_add_f16_e32 v106, v13, v44
	v_sub_f16_e32 v21, v14, v27
	v_add_f16_e32 v108, v46, v31
	v_sub_f16_e32 v48, v32, v41
	v_mul_f16_e32 v51, 0xb770, v20
	v_mul_f16_e32 v68, 0xb770, v47
	v_fma_f16 v35, v17, v4, -v35
	v_fma_f16 v37, v19, v6, -v37
	v_fma_f16 v17, v49, v4, v72
	v_fma_f16 v19, v50, v6, v74
	v_add_f16_e32 v102, v32, v41
	v_add_f16_e32 v105, v14, v27
	v_mul_f16_e32 v49, 0xba95, v21
	v_mul_f16_e32 v67, 0xba95, v48
	;; [unrolled: 1-line block ×3, first 2 shown]
	v_fma_f16 v50, v106, s5, v51
	v_fma_f16 v66, v108, s5, -v68
	v_fma_f16 v26, v52, v9, v77
	v_mul_f16_e32 v76, 0xbb7b, v21
	v_fma_f16 v52, v102, s4, v49
	v_fma_f16 v70, v105, s4, -v67
	v_fma_f16 v71, v106, s4, v75
	v_add_f16_e32 v50, v12, v50
	v_add_f16_e32 v66, v25, v66
	v_mul_f16_e32 v78, 0xba95, v47
	v_fma_f16 v72, v102, s16, v76
	v_add_f16_e32 v71, v12, v71
	v_add_f16_e32 v50, v52, v50
	;; [unrolled: 1-line block ×3, first 2 shown]
	v_fma_f16 v70, v108, s4, -v78
	v_mul_f16_e32 v79, 0xbb7b, v48
	v_add_f16_e32 v66, v72, v71
	v_add_f16_e32 v70, v25, v70
	v_fma_f16 v71, v105, s16, -v79
	v_mul_f16_e32 v80, 0xbbf1, v20
	v_add_f16_e32 v70, v71, v70
	v_fma_f16 v71, v106, s18, v80
	v_mul_f16_e32 v81, 0xb3a8, v21
	v_add_f16_e32 v71, v12, v71
	v_fma_f16 v72, v102, s20, v81
	v_mul_f16_e32 v83, 0xbbf1, v47
	v_add_f16_e32 v71, v72, v71
	v_fma_f16 v72, v108, s18, -v83
	v_mul_f16_e32 v84, 0xb3a8, v48
	v_add_f16_e32 v72, v25, v72
	v_fma_f16 v73, v105, s20, -v84
	v_mul_f16_e32 v86, 0xbb7b, v20
	v_add_f16_e32 v72, v73, v72
	v_fma_f16 v73, v106, s16, v86
	v_mul_f16_e32 v88, 0x394e, v21
	v_add_f16_e32 v73, v12, v73
	v_fma_f16 v74, v102, s19, v88
	v_mul_f16_e32 v91, 0xbb7b, v47
	v_add_f16_e32 v73, v74, v73
	v_fma_f16 v74, v108, s16, -v91
	v_mul_f16_e32 v92, 0x394e, v48
	v_mul_f16_e32 v107, 0xb3a8, v20
	v_add_f16_e32 v74, v25, v74
	v_fma_f16 v77, v105, s19, -v92
	v_mul_f16_e32 v95, 0xb94e, v20
	v_fma_f16 v20, v106, s20, v107
	v_mul_f16_e32 v109, 0x3770, v21
	v_add_f16_e32 v74, v77, v74
	v_fma_f16 v77, v106, s19, v95
	v_mul_f16_e32 v96, 0x3bf1, v21
	v_add_f16_e32 v20, v12, v20
	;; [unrolled: 3-line block ×4, first 2 shown]
	v_fma_f16 v21, v108, s20, -v114
	v_mul_f16_e32 v117, 0x3770, v48
	v_add_f16_e32 v77, v82, v77
	v_fma_f16 v82, v108, s19, -v99
	v_mul_f16_e32 v100, 0x3bf1, v48
	v_add_f16_e32 v21, v25, v21
	v_fma_f16 v47, v105, s5, -v117
	v_add_f16_e32 v82, v25, v82
	v_fma_f16 v85, v105, s18, -v100
	v_add_f16_e32 v21, v47, v21
	v_sub_f16_e32 v47, v15, v26
	v_add_f16_e32 v89, v85, v82
	v_add_f16_e32 v126, v33, v40
	v_mul_f16_e32 v82, 0xbbf1, v47
	v_fma_f16 v48, v126, s18, v82
	v_add_f16_e32 v48, v48, v50
	v_sub_f16_e32 v50, v33, v40
	v_add_f16_e32 v131, v15, v26
	v_mul_f16_e32 v85, 0xbbf1, v50
	v_fma_f16 v87, v131, s18, -v85
	v_add_f16_e32 v52, v87, v52
	v_mul_f16_e32 v87, 0xb3a8, v47
	v_fma_f16 v90, v126, s20, v87
	v_add_f16_e32 v66, v90, v66
	v_mul_f16_e32 v90, 0xb3a8, v50
	v_fma_f16 v93, v131, s20, -v90
	v_add_f16_e32 v70, v93, v70
	v_mul_f16_e32 v93, 0x3b7b, v47
	v_fma_f16 v94, v126, s16, v93
	v_mul_f16_e32 v98, 0x3b7b, v50
	v_add_f16_e32 v71, v94, v71
	v_fma_f16 v94, v131, s16, -v98
	v_mul_f16_e32 v103, 0x3770, v47
	v_add_f16_e32 v72, v94, v72
	v_fma_f16 v94, v126, s5, v103
	v_mul_f16_e32 v112, 0x3770, v50
	v_mul_f16_e32 v124, 0xb94e, v47
	v_add_f16_e32 v73, v94, v73
	v_fma_f16 v94, v131, s5, -v112
	v_mul_f16_e32 v115, 0xba95, v47
	v_fma_f16 v47, v126, s19, v124
	v_mul_f16_e32 v130, 0xb94e, v50
	v_add_f16_e32 v74, v94, v74
	v_fma_f16 v94, v126, s4, v115
	v_mul_f16_e32 v121, 0xba95, v50
	v_add_f16_e32 v20, v47, v20
	v_fma_f16 v47, v131, s19, -v130
	v_add_f16_e32 v77, v94, v77
	v_fma_f16 v94, v131, s4, -v121
	v_add_f16_e32 v21, v47, v21
	v_sub_f16_e32 v47, v16, v23
	v_add_f16_e32 v101, v94, v89
	v_add_f16_e32 v138, v34, v39
	v_mul_f16_e32 v89, 0xbb7b, v47
	v_fma_f16 v50, v138, s16, v89
	v_add_f16_e32 v48, v50, v48
	v_sub_f16_e32 v50, v34, v39
	v_add_f16_e32 v139, v16, v23
	v_mul_f16_e32 v94, 0xbb7b, v50
	v_fma_f16 v97, v139, s16, -v94
	v_add_f16_e32 v52, v97, v52
	v_mul_f16_e32 v97, 0x394e, v47
	v_fma_f16 v104, v138, s19, v97
	v_add_f16_e32 v66, v104, v66
	v_mul_f16_e32 v104, 0x394e, v50
	v_fma_f16 v110, v139, s19, -v104
	v_add_f16_e32 v70, v110, v70
	v_mul_f16_e32 v110, 0x3770, v47
	v_fma_f16 v111, v138, s5, v110
	v_mul_f16_e32 v116, 0x3770, v50
	v_add_f16_e32 v71, v111, v71
	v_fma_f16 v111, v139, s5, -v116
	v_mul_f16_e32 v119, 0xbbf1, v47
	v_add_f16_e32 v72, v111, v72
	v_fma_f16 v111, v138, s18, v119
	v_mul_f16_e32 v125, 0xbbf1, v50
	v_mul_f16_e32 v136, 0x3a95, v47
	v_add_f16_e32 v73, v111, v73
	v_fma_f16 v111, v139, s18, -v125
	v_mul_f16_e32 v128, 0x33a8, v47
	v_fma_f16 v47, v138, s4, v136
	v_mul_f16_e32 v142, 0x3a95, v50
	v_add_f16_e32 v74, v111, v74
	v_fma_f16 v111, v138, s20, v128
	v_mul_f16_e32 v134, 0x33a8, v50
	v_add_f16_e32 v20, v47, v20
	v_fma_f16 v47, v139, s4, -v142
	v_add_f16_e32 v77, v111, v77
	v_fma_f16 v111, v139, s20, -v134
	v_add_f16_e32 v21, v47, v21
	v_sub_f16_e32 v47, v17, v22
	v_add_f16_e32 v118, v111, v101
	v_add_f16_e32 v145, v35, v38
	v_mul_f16_e32 v101, 0xb94e, v47
	v_fma_f16 v50, v145, s19, v101
	v_add_f16_e32 v48, v50, v48
	v_sub_f16_e32 v50, v35, v38
	v_add_f16_e32 v148, v17, v22
	v_mul_f16_e32 v111, 0xb94e, v50
	v_fma_f16 v113, v148, s19, -v111
	v_add_f16_e32 v52, v113, v52
	v_mul_f16_e32 v113, 0x3bf1, v47
	v_fma_f16 v120, v145, s18, v113
	v_add_f16_e32 v66, v120, v66
	v_mul_f16_e32 v120, 0x3bf1, v50
	v_fma_f16 v122, v148, s18, -v120
	v_add_f16_e32 v70, v122, v70
	v_mul_f16_e32 v122, 0xba95, v47
	v_fma_f16 v123, v145, s4, v122
	v_mul_f16_e32 v129, 0xba95, v50
	v_add_f16_e32 v141, v123, v71
	v_fma_f16 v71, v148, s4, -v129
	v_mul_f16_e32 v132, 0x33a8, v47
	v_add_f16_e32 v72, v71, v72
	v_fma_f16 v71, v145, s20, v132
	v_mul_f16_e32 v137, 0x33a8, v50
	v_add_f16_e32 v147, v71, v73
	v_fma_f16 v71, v148, s20, -v137
	v_mul_f16_e32 v140, 0x3770, v47
	v_add_f16_e32 v74, v71, v74
	v_fma_f16 v71, v145, s5, v140
	v_mul_f16_e32 v144, 0x3770, v50
	v_mul_f16_e32 v146, 0xbb7b, v47
	v_add_f16_e32 v77, v71, v77
	v_fma_f16 v71, v148, s5, -v144
	v_fma_f16 v47, v145, s16, v146
	v_mul_f16_e32 v150, 0xbb7b, v50
	v_sub_f16_e32 v155, v18, v19
	v_sub_f16_e32 v156, v36, v37
	v_add_f16_e32 v154, v71, v118
	v_add_f16_e32 v20, v47, v20
	v_fma_f16 v47, v148, s16, -v150
	v_add_f16_e32 v151, v36, v37
	v_mul_f16_e32 v118, 0xb3a8, v155
	v_add_f16_e32 v153, v18, v19
	v_mul_f16_e32 v133, 0x3770, v156
	v_add_f16_e32 v21, v47, v21
	v_fma_f16 v47, v151, s20, v118
	v_mul_f16_e32 v123, 0xb3a8, v156
	v_fma_f16 v50, v153, s5, -v133
	v_mul_f16_e32 v135, 0xb94e, v155
	v_add_f16_e32 v47, v47, v48
	v_fma_f16 v48, v153, s20, -v123
	v_mul_f16_e32 v127, 0x3770, v155
	v_add_f16_e32 v71, v50, v70
	v_fma_f16 v50, v151, s19, v135
	v_add_f16_e32 v52, v48, v52
	v_fma_f16 v48, v151, s5, v127
	v_add_f16_e32 v50, v50, v141
	v_mul_f16_e32 v141, 0xb94e, v156
	v_add_f16_e32 v48, v48, v66
	v_fma_f16 v66, v153, s19, -v141
	v_mul_f16_e32 v143, 0x3a95, v155
	v_add_f16_e32 v73, v66, v72
	v_fma_f16 v66, v151, s4, v143
	v_add_f16_e32 v70, v66, v147
	v_mul_f16_e32 v147, 0x3a95, v156
	v_fma_f16 v66, v153, s4, -v147
	v_mul_f16_e32 v149, 0xbb7b, v155
	v_add_f16_e32 v74, v66, v74
	v_fma_f16 v66, v151, s16, v149
	v_mul_f16_e32 v152, 0xbb7b, v156
	v_add_f16_e32 v72, v66, v77
	v_fma_f16 v66, v153, s16, -v152
	v_add_f16_e32 v77, v66, v154
	v_mul_f16_e32 v154, 0x3bf1, v155
	v_fma_f16 v66, v151, s18, v154
	v_mul_f16_e32 v155, 0x3bf1, v156
	v_add_f16_e32 v20, v66, v20
	v_fma_f16 v66, v153, s18, -v155
	v_add_f16_e32 v21, v66, v21
	v_lshrrev_b32_e32 v66, 1, v62
	s_and_saveexec_b64 s[4:5], s[2:3]
	s_cbranch_execz .LBB0_11
; %bb.10:
	v_mul_f16_e32 v156, 0x3b15, v106
	v_mul_f16_e32 v158, 0x388b, v106
	;; [unrolled: 1-line block ×6, first 2 shown]
	v_sub_f16_e32 v106, v106, v107
	v_sub_f16_e32 v95, v164, v95
	v_sub_f16_e32 v86, v162, v86
	v_sub_f16_e32 v80, v160, v80
	v_sub_f16_e32 v75, v158, v75
	v_sub_f16_e32 v51, v156, v51
	v_add_f16_e32 v106, v12, v106
	v_add_f16_e32 v95, v12, v95
	;; [unrolled: 1-line block ×14, first 2 shown]
	v_mul_f16_e32 v157, 0x3b15, v108
	v_add_f16_e32 v12, v12, v35
	v_add_f16_e32 v13, v13, v17
	v_mul_f16_e32 v159, 0x388b, v108
	v_mul_f16_e32 v161, 0x2fb7, v108
	;; [unrolled: 1-line block ×4, first 2 shown]
	v_add_f16_e32 v68, v68, v157
	v_add_f16_e32 v12, v12, v36
	;; [unrolled: 1-line block ×3, first 2 shown]
	v_mul_f16_e32 v163, 0xb5ac, v108
	v_mul_f16_e32 v165, 0xb9fd, v108
	;; [unrolled: 1-line block ×8, first 2 shown]
	v_add_f16_e32 v83, v83, v161
	v_add_f16_e32 v78, v78, v159
	;; [unrolled: 1-line block ×4, first 2 shown]
	v_sub_f16_e32 v49, v166, v49
	v_add_f16_e32 v12, v12, v37
	v_add_f16_e32 v13, v13, v19
	v_mul_f16_e32 v108, 0xbbc4, v108
	v_mul_f16_e32 v172, 0xb9fd, v102
	;; [unrolled: 1-line block ×11, first 2 shown]
	v_add_f16_e32 v99, v99, v165
	v_add_f16_e32 v91, v91, v163
	;; [unrolled: 1-line block ×4, first 2 shown]
	v_sub_f16_e32 v81, v170, v81
	v_add_f16_e32 v78, v25, v78
	v_add_f16_e32 v79, v79, v169
	v_sub_f16_e32 v76, v168, v76
	v_add_f16_e32 v67, v67, v68
	v_add_f16_e32 v68, v85, v177
	;; [unrolled: 1-line block ×3, first 2 shown]
	v_sub_f16_e32 v51, v176, v82
	v_add_f16_e32 v12, v12, v38
	v_add_f16_e32 v13, v13, v22
	v_mul_f16_e32 v102, 0x3b15, v102
	v_mul_f16_e32 v105, 0x3b15, v105
	;; [unrolled: 1-line block ×12, first 2 shown]
	v_add_f16_e32 v108, v114, v108
	v_add_f16_e32 v99, v25, v99
	;; [unrolled: 1-line block ×3, first 2 shown]
	v_sub_f16_e32 v96, v174, v96
	v_add_f16_e32 v91, v25, v91
	v_add_f16_e32 v92, v92, v173
	v_sub_f16_e32 v88, v172, v88
	v_add_f16_e32 v83, v84, v83
	v_add_f16_e32 v84, v98, v181
	v_add_f16_e32 v80, v81, v80
	v_sub_f16_e32 v81, v180, v93
	v_add_f16_e32 v78, v79, v78
	;; [unrolled: 4-line block ×4, first 2 shown]
	v_add_f16_e32 v13, v13, v23
	v_mul_f16_e32 v126, 0xb9fd, v126
	v_mul_f16_e32 v131, 0xb9fd, v131
	;; [unrolled: 1-line block ×12, first 2 shown]
	v_add_f16_e32 v108, v25, v108
	v_add_f16_e32 v105, v117, v105
	v_sub_f16_e32 v102, v102, v109
	v_add_f16_e32 v99, v100, v99
	v_add_f16_e32 v100, v121, v185
	v_add_f16_e32 v95, v96, v95
	v_sub_f16_e32 v96, v184, v115
	v_add_f16_e32 v91, v92, v91
	;; [unrolled: 4-line block ×6, first 2 shown]
	v_add_f16_e32 v13, v13, v26
	v_mul_f16_e32 v138, 0x388b, v138
	v_mul_f16_e32 v139, 0x388b, v139
	;; [unrolled: 1-line block ×10, first 2 shown]
	v_add_f16_e32 v105, v105, v108
	v_add_f16_e32 v108, v130, v131
	v_add_f16_e32 v102, v102, v106
	v_sub_f16_e32 v106, v126, v124
	v_add_f16_e32 v99, v100, v99
	v_add_f16_e32 v100, v134, v195
	v_add_f16_e32 v95, v96, v95
	v_sub_f16_e32 v96, v194, v128
	;; [unrolled: 4-line block ×6, first 2 shown]
	v_add_f16_e32 v12, v12, v41
	v_add_f16_e32 v13, v13, v27
	v_mul_u32_u24_e32 v14, 26, v66
	v_mul_f16_e32 v145, 0xb5ac, v145
	v_mul_f16_e32 v148, 0xb5ac, v148
	;; [unrolled: 1-line block ×6, first 2 shown]
	v_add_f16_e32 v105, v108, v105
	v_add_f16_e32 v108, v142, v139
	v_add_f16_e32 v102, v106, v102
	v_sub_f16_e32 v106, v138, v136
	v_add_f16_e32 v99, v100, v99
	v_add_f16_e32 v100, v144, v205
	v_add_f16_e32 v95, v96, v95
	v_sub_f16_e32 v96, v204, v140
	;; [unrolled: 4-line block ×5, first 2 shown]
	v_add_f16_e32 v67, v68, v67
	v_add_f16_e32 v49, v51, v49
	;; [unrolled: 1-line block ×4, first 2 shown]
	v_or_b32_e32 v14, v14, v65
	v_mul_f16_e32 v151, 0x2fb7, v151
	v_mul_f16_e32 v153, 0x2fb7, v153
	v_add_f16_e32 v105, v108, v105
	v_add_f16_e32 v108, v150, v148
	v_add_f16_e32 v102, v106, v102
	v_sub_f16_e32 v106, v145, v146
	v_add_f16_e32 v99, v100, v99
	v_add_f16_e32 v100, v152, v215
	v_add_f16_e32 v95, v96, v95
	v_sub_f16_e32 v96, v214, v149
	;; [unrolled: 4-line block ×3, first 2 shown]
	v_add_f16_e32 v83, v84, v83
	v_add_f16_e32 v80, v81, v80
	v_add_f16_e32 v78, v79, v78
	v_add_f16_e32 v75, v76, v75
	v_lshlrev_b32_e32 v14, 2, v14
	v_pack_b32_f16 v12, v12, v13
	v_pack_b32_f16 v13, v49, v67
	v_add_f16_e32 v105, v108, v105
	v_add_f16_e32 v108, v155, v153
	;; [unrolled: 1-line block ×3, first 2 shown]
	v_sub_f16_e32 v106, v151, v154
	v_add_f16_e32 v99, v100, v99
	v_add_f16_e32 v95, v96, v95
	;; [unrolled: 1-line block ×4, first 2 shown]
	ds_write2_b32 v14, v12, v13 offset1:2
	v_pack_b32_f16 v12, v75, v78
	v_pack_b32_f16 v13, v80, v83
	v_add_f16_e32 v105, v108, v105
	v_add_f16_e32 v102, v106, v102
	ds_write2_b32 v14, v12, v13 offset0:4 offset1:6
	v_pack_b32_f16 v12, v86, v91
	v_pack_b32_f16 v13, v95, v99
	s_mov_b32 s16, 0x5040100
	ds_write2_b32 v14, v12, v13 offset0:8 offset1:10
	v_pack_b32_f16 v12, v102, v105
	v_perm_b32 v13, v21, v20, s16
	ds_write2_b32 v14, v12, v13 offset0:12 offset1:14
	v_perm_b32 v12, v77, v72, s16
	v_perm_b32 v13, v74, v70, s16
	ds_write2_b32 v14, v12, v13 offset0:16 offset1:18
	v_perm_b32 v12, v73, v50, s16
	;; [unrolled: 3-line block ×3, first 2 shown]
	ds_write_b32 v14, v12 offset:96
.LBB0_11:
	s_or_b64 exec, exec, s[4:5]
	s_waitcnt lgkmcnt(0)
	s_barrier
	ds_read_b32 v22, v53
	ds_read_b32 v36, v53 offset:1144
	ds_read_b32 v35, v53 offset:2288
	;; [unrolled: 1-line block ×6, first 2 shown]
	s_movk_i32 s4, 0x68
	v_cmp_gt_u16_e64 s[4:5], s4, v62
                                        ; implicit-def: $vgpr37
                                        ; implicit-def: $vgpr38
	s_and_saveexec_b64 s[18:19], s[4:5]
	s_cbranch_execz .LBB0_13
; %bb.12:
	ds_read_b32 v20, v53 offset:728
	ds_read_b32 v72, v53 offset:1872
	;; [unrolled: 1-line block ×7, first 2 shown]
	s_waitcnt lgkmcnt(6)
	v_lshrrev_b32_e32 v21, 16, v20
	s_waitcnt lgkmcnt(5)
	v_lshrrev_b32_e32 v77, 16, v72
	;; [unrolled: 2-line block ×7, first 2 shown]
.LBB0_13:
	s_or_b64 exec, exec, s[18:19]
	s_movk_i32 s16, 0x4ec5
	v_mul_u32_u24_sdwa v12, v24, s16 dst_sel:DWORD dst_unused:UNUSED_PAD src0_sel:WORD_0 src1_sel:DWORD
	v_lshrrev_b32_e32 v67, 19, v12
	v_mul_lo_u16_e32 v12, 26, v67
	v_sub_u16_e32 v68, v24, v12
	v_mul_lo_u16_e32 v12, 24, v68
	v_mov_b32_e32 v13, s15
	v_add_co_u32_e32 v16, vcc, s14, v12
	v_addc_co_u32_e32 v17, vcc, 0, v13, vcc
	s_movk_i32 s16, 0x4f
	global_load_dwordx4 v[12:15], v[16:17], off offset:96
	global_load_dwordx2 v[31:32], v[16:17], off offset:112
	v_mul_lo_u16_sdwa v16, v62, s16 dst_sel:DWORD dst_unused:UNUSED_PAD src0_sel:BYTE_0 src1_sel:DWORD
	v_lshrrev_b16_e32 v41, 11, v16
	v_mul_lo_u16_e32 v16, 26, v41
	v_sub_u16_e32 v16, v62, v16
	v_and_b32_e32 v44, 0xff, v16
	v_mad_u64_u32 v[39:40], s[18:19], v44, 24, s[14:15]
	global_load_dwordx4 v[16:19], v[39:40], off offset:96
	global_load_dwordx2 v[33:34], v[39:40], off offset:112
	s_waitcnt lgkmcnt(5)
	v_lshrrev_b32_e32 v24, 16, v36
	s_waitcnt lgkmcnt(4)
	v_lshrrev_b32_e32 v39, 16, v35
	s_waitcnt lgkmcnt(1)
	v_lshrrev_b32_e32 v49, 16, v25
	s_waitcnt lgkmcnt(0)
	v_lshrrev_b32_e32 v51, 16, v23
	v_lshrrev_b32_e32 v40, 16, v27
	v_lshrrev_b32_e32 v46, 16, v26
	s_movk_i32 s16, 0x2b26
	s_movk_i32 s18, 0x3b00
	s_mov_b32 s19, 0xbcab
	s_movk_i32 s20, 0x39e0
	s_mov_b32 s21, 0xb9e0
	;; [unrolled: 2-line block ×3, first 2 shown]
	s_movk_i32 s24, 0x370e
	v_mul_u32_u24_e32 v41, 0xb6, v41
	s_waitcnt vmcnt(0)
	s_barrier
	v_mul_f16_sdwa v75, v77, v12 dst_sel:DWORD dst_unused:UNUSED_PAD src0_sel:DWORD src1_sel:WORD_1
	v_mul_f16_sdwa v76, v72, v12 dst_sel:DWORD dst_unused:UNUSED_PAD src0_sel:DWORD src1_sel:WORD_1
	v_mul_f16_sdwa v78, v74, v13 dst_sel:DWORD dst_unused:UNUSED_PAD src0_sel:DWORD src1_sel:WORD_1
	v_mul_f16_sdwa v79, v70, v13 dst_sel:DWORD dst_unused:UNUSED_PAD src0_sel:DWORD src1_sel:WORD_1
	v_mul_f16_sdwa v84, v52, v31 dst_sel:DWORD dst_unused:UNUSED_PAD src0_sel:DWORD src1_sel:WORD_1
	v_mul_f16_sdwa v85, v47, v31 dst_sel:DWORD dst_unused:UNUSED_PAD src0_sel:DWORD src1_sel:WORD_1
	v_mul_f16_sdwa v86, v38, v32 dst_sel:DWORD dst_unused:UNUSED_PAD src0_sel:DWORD src1_sel:WORD_1
	v_mul_f16_sdwa v87, v37, v32 dst_sel:DWORD dst_unused:UNUSED_PAD src0_sel:DWORD src1_sel:WORD_1
	v_mul_f16_sdwa v80, v73, v14 dst_sel:DWORD dst_unused:UNUSED_PAD src0_sel:DWORD src1_sel:WORD_1
	v_mul_f16_sdwa v81, v50, v14 dst_sel:DWORD dst_unused:UNUSED_PAD src0_sel:DWORD src1_sel:WORD_1
	v_mul_f16_sdwa v82, v71, v15 dst_sel:DWORD dst_unused:UNUSED_PAD src0_sel:DWORD src1_sel:WORD_1
	v_mul_f16_sdwa v83, v48, v15 dst_sel:DWORD dst_unused:UNUSED_PAD src0_sel:DWORD src1_sel:WORD_1
	v_fma_f16 v72, v72, v12, -v75
	v_fma_f16 v75, v77, v12, v76
	v_fma_f16 v70, v70, v13, -v78
	v_fma_f16 v74, v74, v13, v79
	v_fma_f16 v47, v47, v31, -v84
	v_fma_f16 v52, v52, v31, v85
	v_fma_f16 v37, v37, v32, -v86
	v_fma_f16 v38, v38, v32, v87
	v_mul_f16_sdwa v76, v24, v16 dst_sel:DWORD dst_unused:UNUSED_PAD src0_sel:DWORD src1_sel:WORD_1
	v_mul_f16_sdwa v77, v36, v16 dst_sel:DWORD dst_unused:UNUSED_PAD src0_sel:DWORD src1_sel:WORD_1
	;; [unrolled: 1-line block ×8, first 2 shown]
	v_fma_f16 v50, v50, v14, -v80
	v_fma_f16 v73, v73, v14, v81
	v_fma_f16 v48, v48, v15, -v82
	v_fma_f16 v71, v71, v15, v83
	v_mul_f16_sdwa v80, v40, v18 dst_sel:DWORD dst_unused:UNUSED_PAD src0_sel:DWORD src1_sel:WORD_1
	v_mul_f16_sdwa v81, v27, v18 dst_sel:DWORD dst_unused:UNUSED_PAD src0_sel:DWORD src1_sel:WORD_1
	;; [unrolled: 1-line block ×4, first 2 shown]
	v_fma_f16 v36, v36, v16, -v76
	v_fma_f16 v24, v24, v16, v77
	v_fma_f16 v35, v35, v17, -v78
	v_fma_f16 v39, v39, v17, v79
	v_fma_f16 v25, v25, v33, -v84
	v_fma_f16 v49, v49, v33, v85
	v_fma_f16 v23, v23, v34, -v86
	v_fma_f16 v51, v51, v34, v87
	v_fma_f16 v27, v27, v18, -v80
	v_fma_f16 v40, v40, v18, v81
	v_fma_f16 v26, v26, v19, -v82
	v_fma_f16 v46, v46, v19, v83
	v_add_f16_e32 v76, v36, v23
	v_add_f16_e32 v77, v24, v51
	v_sub_f16_e32 v23, v36, v23
	v_sub_f16_e32 v24, v24, v51
	v_add_f16_e32 v36, v35, v25
	v_add_f16_e32 v51, v39, v49
	v_sub_f16_e32 v25, v35, v25
	v_sub_f16_e32 v35, v39, v49
	;; [unrolled: 4-line block ×4, first 2 shown]
	v_sub_f16_e32 v76, v76, v39
	v_sub_f16_e32 v77, v77, v49
	;; [unrolled: 1-line block ×4, first 2 shown]
	v_add_f16_e32 v80, v26, v25
	v_add_f16_e32 v81, v27, v35
	v_sub_f16_e32 v82, v26, v25
	v_sub_f16_e32 v83, v27, v35
	;; [unrolled: 1-line block ×4, first 2 shown]
	v_add_f16_e32 v39, v39, v40
	v_add_f16_e32 v40, v49, v46
	v_sub_f16_e32 v26, v23, v26
	v_sub_f16_e32 v27, v24, v27
	v_add_f16_e32 v23, v80, v23
	v_add_f16_e32 v24, v81, v24
	;; [unrolled: 1-line block ×3, first 2 shown]
	v_add_f16_sdwa v49, v22, v40 dst_sel:DWORD dst_unused:UNUSED_PAD src0_sel:WORD_1 src1_sel:DWORD
	v_mul_f16_e32 v22, 0x3a52, v76
	v_mul_f16_e32 v76, 0x3a52, v77
	;; [unrolled: 1-line block ×8, first 2 shown]
	v_fma_f16 v39, v39, s19, v46
	v_fma_f16 v40, v40, s19, v49
	;; [unrolled: 1-line block ×4, first 2 shown]
	v_fma_f16 v77, v78, s20, -v77
	v_fma_f16 v80, v79, s20, -v80
	;; [unrolled: 1-line block ×4, first 2 shown]
	v_fma_f16 v78, v26, s22, v81
	v_fma_f16 v79, v27, s22, v82
	v_fma_f16 v25, v25, s18, -v81
	v_fma_f16 v35, v35, s18, -v82
	;; [unrolled: 1-line block ×4, first 2 shown]
	v_add_f16_e32 v36, v36, v39
	v_add_f16_e32 v51, v51, v40
	;; [unrolled: 1-line block ×6, first 2 shown]
	v_fma_f16 v40, v23, s24, v78
	v_fma_f16 v76, v24, s24, v79
	;; [unrolled: 1-line block ×6, first 2 shown]
	v_add_f16_e32 v81, v24, v22
	v_sub_f16_e32 v82, v39, v23
	v_sub_f16_e32 v83, v77, v35
	v_add_f16_e32 v77, v35, v77
	v_sub_f16_e32 v85, v22, v24
	v_add_f16_e32 v86, v23, v39
	v_add_f16_e32 v22, v72, v37
	;; [unrolled: 1-line block ×3, first 2 shown]
	v_sub_f16_e32 v24, v72, v37
	v_add_f16_e32 v26, v70, v47
	v_add_f16_e32 v27, v74, v52
	v_sub_f16_e32 v35, v70, v47
	v_sub_f16_e32 v39, v48, v50
	v_add_f16_e32 v78, v76, v36
	v_sub_f16_e32 v79, v51, v40
	v_add_f16_e32 v84, v25, v80
	v_sub_f16_e32 v80, v80, v25
	v_sub_f16_e32 v76, v36, v76
	v_add_f16_e32 v51, v40, v51
	v_sub_f16_e32 v25, v75, v38
	v_sub_f16_e32 v36, v74, v52
	v_add_f16_e32 v37, v50, v48
	v_add_f16_e32 v38, v73, v71
	v_sub_f16_e32 v40, v71, v73
	v_add_f16_e32 v47, v26, v22
	v_add_f16_e32 v48, v27, v23
	;; [unrolled: 1-line block ×3, first 2 shown]
	v_sub_f16_e32 v72, v39, v35
	v_sub_f16_e32 v35, v35, v24
	;; [unrolled: 1-line block ×8, first 2 shown]
	v_add_f16_e32 v71, v40, v36
	v_sub_f16_e32 v73, v40, v36
	v_sub_f16_e32 v39, v24, v39
	;; [unrolled: 1-line block ×3, first 2 shown]
	v_add_f16_e32 v37, v37, v47
	v_add_f16_e32 v38, v38, v48
	;; [unrolled: 1-line block ×3, first 2 shown]
	v_mul_f16_e32 v70, 0xb846, v72
	v_mul_f16_e32 v72, 0x3b00, v35
	v_sub_f16_e32 v40, v25, v40
	v_add_f16_e32 v48, v71, v25
	v_add_f16_e32 v20, v20, v37
	v_add_f16_e32 v21, v21, v38
	v_mul_f16_e32 v22, 0x3a52, v22
	v_mul_f16_e32 v23, 0x3a52, v23
	;; [unrolled: 1-line block ×6, first 2 shown]
	v_fma_f16 v74, v39, s22, v70
	v_fma_f16 v39, v39, s23, -v72
	v_add_lshl_u32 v72, v41, v44, 2
	v_pack_b32_f16 v41, v46, v49
	v_pack_b32_f16 v44, v78, v79
	v_fma_f16 v37, v37, s19, v20
	v_fma_f16 v38, v38, s19, v21
	;; [unrolled: 1-line block ×4, first 2 shown]
	v_fma_f16 v24, v50, s20, -v24
	v_fma_f16 v25, v52, s20, -v25
	;; [unrolled: 1-line block ×4, first 2 shown]
	v_fma_f16 v75, v40, s22, v71
	v_fma_f16 v70, v35, s18, -v70
	v_fma_f16 v71, v36, s18, -v71
	;; [unrolled: 1-line block ×3, first 2 shown]
	ds_write2_b32 v72, v41, v44 offset1:26
	v_pack_b32_f16 v41, v81, v82
	v_pack_b32_f16 v44, v83, v84
	v_add_f16_e32 v22, v26, v37
	v_add_f16_e32 v23, v27, v38
	;; [unrolled: 1-line block ×6, first 2 shown]
	v_fma_f16 v26, v47, s24, v74
	v_fma_f16 v27, v48, s24, v75
	;; [unrolled: 1-line block ×6, first 2 shown]
	ds_write2_b32 v72, v41, v44 offset0:52 offset1:78
	v_pack_b32_f16 v41, v77, v80
	v_pack_b32_f16 v44, v85, v86
	v_add_f16_e32 v47, v38, v24
	v_sub_f16_e32 v75, v35, v37
	v_sub_f16_e32 v73, v25, v40
	v_add_f16_e32 v74, v39, v36
	v_sub_f16_e32 v70, v22, v27
	v_add_f16_e32 v71, v26, v23
	s_movk_i32 s16, 0xb6
	ds_write2_b32 v72, v41, v44 offset0:104 offset1:130
	v_pack_b32_f16 v41, v76, v51
	ds_write_b32 v72, v41 offset:624
	s_and_saveexec_b64 s[18:19], s[4:5]
	s_cbranch_execz .LBB0_15
; %bb.14:
	v_sub_f16_e32 v23, v23, v26
	v_add_f16_e32 v22, v27, v22
	v_mad_legacy_u16 v26, v67, s16, v68
	s_mov_b32 s16, 0x5040100
	v_add_f16_e32 v35, v37, v35
	v_sub_f16_e32 v24, v24, v38
	v_sub_f16_e32 v36, v36, v39
	v_add_f16_e32 v25, v40, v25
	v_lshlrev_b32_e32 v26, 2, v26
	v_perm_b32 v20, v21, v20, s16
	v_pack_b32_f16 v21, v22, v23
	ds_write2_b32 v26, v20, v21 offset1:26
	v_pack_b32_f16 v20, v25, v36
	v_pack_b32_f16 v21, v24, v35
	ds_write2_b32 v26, v20, v21 offset0:52 offset1:78
	v_perm_b32 v20, v75, v47, s16
	v_perm_b32 v21, v74, v73, s16
	ds_write2_b32 v26, v20, v21 offset0:104 offset1:130
	v_perm_b32 v20, v71, v70, s16
	ds_write_b32 v26, v20 offset:624
.LBB0_15:
	s_or_b64 exec, exec, s[18:19]
	v_mad_u64_u32 v[37:38], s[14:15], v62, 40, s[14:15]
	s_waitcnt lgkmcnt(0)
	s_barrier
	global_load_dwordx4 v[20:23], v[37:38], off offset:720
	global_load_dwordx4 v[24:27], v[37:38], off offset:736
	global_load_dwordx2 v[35:36], v[37:38], off offset:752
	ds_read2_b32 v[37:38], v53 offset1:182
	v_add_u32_e32 v40, 0x500, v53
	v_add_u32_e32 v41, 0xb00, v53
	;; [unrolled: 1-line block ×4, first 2 shown]
	ds_read_b32 v52, v53 offset:7280
	ds_read2_b32 v[48:49], v40 offset0:44 offset1:226
	ds_read2_b32 v[50:51], v41 offset0:24 offset1:206
	;; [unrolled: 1-line block ×4, first 2 shown]
	s_waitcnt lgkmcnt(5)
	v_lshrrev_b32_e32 v80, 16, v38
	s_waitcnt lgkmcnt(3)
	v_lshrrev_b32_e32 v82, 16, v48
	v_lshrrev_b32_e32 v83, 16, v49
	s_waitcnt lgkmcnt(2)
	v_lshrrev_b32_e32 v84, 16, v50
	;; [unrolled: 3-line block ×4, first 2 shown]
	v_lshrrev_b32_e32 v81, 16, v52
	v_lshrrev_b32_e32 v89, 16, v79
	v_mov_b32_e32 v39, s17
	v_addc_co_u32_e64 v39, vcc, 0, v39, s[6:7]
	s_movk_i32 s15, 0x3abb
	s_movk_i32 s6, 0x36a6
	s_mov_b32 s7, 0xb08e
	s_mov_b32 s16, 0xb93d
	;; [unrolled: 1-line block ×3, first 2 shown]
	s_movk_i32 s14, 0x1000
	s_waitcnt vmcnt(2)
	v_mul_f16_sdwa v90, v80, v20 dst_sel:DWORD dst_unused:UNUSED_PAD src0_sel:DWORD src1_sel:WORD_1
	v_mul_f16_sdwa v91, v38, v20 dst_sel:DWORD dst_unused:UNUSED_PAD src0_sel:DWORD src1_sel:WORD_1
	;; [unrolled: 1-line block ×3, first 2 shown]
	v_fma_f16 v38, v38, v20, -v90
	v_mul_f16_sdwa v93, v48, v21 dst_sel:DWORD dst_unused:UNUSED_PAD src0_sel:DWORD src1_sel:WORD_1
	v_mul_f16_sdwa v94, v83, v22 dst_sel:DWORD dst_unused:UNUSED_PAD src0_sel:DWORD src1_sel:WORD_1
	v_fma_f16 v80, v80, v20, v91
	v_fma_f16 v48, v48, v21, -v92
	v_add_f16_e32 v90, v37, v38
	v_mul_f16_sdwa v95, v49, v22 dst_sel:DWORD dst_unused:UNUSED_PAD src0_sel:DWORD src1_sel:WORD_1
	v_mul_f16_sdwa v96, v84, v23 dst_sel:DWORD dst_unused:UNUSED_PAD src0_sel:DWORD src1_sel:WORD_1
	v_fma_f16 v82, v82, v21, v93
	v_fma_f16 v49, v49, v22, -v94
	v_add_f16_sdwa v91, v37, v80 dst_sel:DWORD dst_unused:UNUSED_PAD src0_sel:WORD_1 src1_sel:DWORD
	v_add_f16_e32 v90, v90, v48
	v_mul_f16_sdwa v97, v50, v23 dst_sel:DWORD dst_unused:UNUSED_PAD src0_sel:DWORD src1_sel:WORD_1
	s_waitcnt vmcnt(1)
	v_mul_f16_sdwa v98, v85, v24 dst_sel:DWORD dst_unused:UNUSED_PAD src0_sel:DWORD src1_sel:WORD_1
	v_fma_f16 v83, v83, v22, v95
	v_fma_f16 v50, v50, v23, -v96
	v_add_f16_e32 v91, v91, v82
	v_add_f16_e32 v90, v90, v49
	v_mul_f16_sdwa v99, v51, v24 dst_sel:DWORD dst_unused:UNUSED_PAD src0_sel:DWORD src1_sel:WORD_1
	v_mul_f16_sdwa v100, v86, v25 dst_sel:DWORD dst_unused:UNUSED_PAD src0_sel:DWORD src1_sel:WORD_1
	v_fma_f16 v84, v84, v23, v97
	v_fma_f16 v51, v51, v24, -v98
	v_add_f16_e32 v91, v91, v83
	v_add_f16_e32 v90, v90, v50
	v_mul_f16_sdwa v101, v76, v25 dst_sel:DWORD dst_unused:UNUSED_PAD src0_sel:DWORD src1_sel:WORD_1
	;; [unrolled: 6-line block ×4, first 2 shown]
	s_waitcnt vmcnt(0)
	v_mul_f16_sdwa v106, v89, v35 dst_sel:DWORD dst_unused:UNUSED_PAD src0_sel:DWORD src1_sel:WORD_1
	v_mul_f16_sdwa v108, v81, v36 dst_sel:DWORD dst_unused:UNUSED_PAD src0_sel:DWORD src1_sel:WORD_1
	;; [unrolled: 1-line block ×3, first 2 shown]
	v_fma_f16 v87, v87, v26, v103
	v_fma_f16 v78, v78, v27, -v104
	v_add_f16_e32 v91, v91, v86
	v_add_f16_e32 v90, v90, v77
	v_mul_f16_sdwa v107, v79, v35 dst_sel:DWORD dst_unused:UNUSED_PAD src0_sel:DWORD src1_sel:WORD_1
	v_fma_f16 v88, v88, v27, v105
	v_fma_f16 v79, v79, v35, -v106
	v_fma_f16 v52, v52, v36, -v108
	v_fma_f16 v81, v81, v36, v109
	v_add_f16_e32 v91, v91, v87
	v_add_f16_e32 v90, v90, v78
	v_fma_f16 v89, v89, v35, v107
	v_add_f16_e32 v92, v38, v52
	v_add_f16_e32 v93, v80, v81
	v_sub_f16_e32 v38, v38, v52
	v_sub_f16_e32 v80, v80, v81
	v_add_f16_e32 v91, v91, v88
	v_add_f16_e32 v90, v90, v79
	;; [unrolled: 1-line block ×4, first 2 shown]
	v_mul_f16_e32 v90, 0xb853, v80
	v_mul_f16_e32 v94, 0xb853, v38
	;; [unrolled: 1-line block ×10, first 2 shown]
	v_add_f16_e32 v81, v91, v81
	v_fma_f16 v91, v92, s15, -v90
	v_fma_f16 v95, v93, s15, v94
	v_fma_f16 v90, v92, s15, v90
	v_fma_f16 v94, v93, s15, -v94
	v_fma_f16 v97, v92, s6, -v96
	v_fma_f16 v99, v93, s6, v98
	v_fma_f16 v96, v92, s6, v96
	v_fma_f16 v98, v93, s6, -v98
	;; [unrolled: 4-line block ×5, first 2 shown]
	v_add_f16_e32 v91, v37, v91
	v_add_f16_sdwa v95, v37, v95 dst_sel:DWORD dst_unused:UNUSED_PAD src0_sel:WORD_1 src1_sel:DWORD
	v_add_f16_e32 v90, v37, v90
	v_add_f16_sdwa v94, v37, v94 dst_sel:DWORD dst_unused:UNUSED_PAD src0_sel:WORD_1 src1_sel:DWORD
	;; [unrolled: 2-line block ×10, first 2 shown]
	v_add_f16_e32 v38, v48, v79
	v_sub_f16_e32 v48, v48, v79
	v_sub_f16_e32 v79, v82, v89
	v_add_f16_e32 v92, v82, v89
	v_mul_f16_e32 v82, 0xbb47, v79
	v_fma_f16 v89, v38, s6, -v82
	v_add_f16_e32 v89, v89, v91
	v_mul_f16_e32 v91, 0xbb47, v48
	v_fma_f16 v82, v38, s6, v82
	v_fma_f16 v93, v92, s6, v91
	v_add_f16_e32 v82, v82, v90
	v_fma_f16 v90, v92, s6, -v91
	v_mul_f16_e32 v91, 0xba0c, v79
	v_add_f16_e32 v93, v93, v95
	v_add_f16_e32 v90, v90, v94
	v_fma_f16 v94, v38, s16, -v91
	v_mul_f16_e32 v95, 0xba0c, v48
	v_fma_f16 v91, v38, s16, v91
	v_add_f16_e32 v94, v94, v97
	v_fma_f16 v97, v92, s16, v95
	v_add_f16_e32 v91, v91, v96
	v_fma_f16 v95, v92, s16, -v95
	v_mul_f16_e32 v96, 0x3482, v79
	v_add_f16_e32 v97, v97, v99
	v_add_f16_e32 v95, v95, v98
	v_fma_f16 v98, v38, s17, -v96
	v_mul_f16_e32 v99, 0x3482, v48
	v_fma_f16 v96, v38, s17, v96
	v_add_f16_e32 v98, v98, v101
	v_fma_f16 v101, v92, s17, v99
	v_add_f16_e32 v96, v96, v100
	v_fma_f16 v99, v92, s17, -v99
	v_mul_f16_e32 v100, 0x3beb, v79
	v_add_f16_e32 v101, v101, v103
	v_add_f16_e32 v99, v99, v102
	v_fma_f16 v102, v38, s7, -v100
	v_mul_f16_e32 v103, 0x3beb, v48
	v_add_f16_e32 v102, v102, v105
	v_fma_f16 v105, v92, s7, v103
	v_fma_f16 v103, v92, s7, -v103
	v_mul_f16_e32 v48, 0x3853, v48
	v_fma_f16 v100, v38, s7, v100
	v_add_f16_e32 v103, v103, v106
	v_mul_f16_e32 v79, 0x3853, v79
	v_fma_f16 v106, v92, s15, v48
	v_fma_f16 v48, v92, s15, -v48
	v_add_f16_e32 v100, v100, v104
	v_fma_f16 v104, v38, s15, -v79
	v_fma_f16 v38, v38, s15, v79
	v_add_f16_e32 v37, v48, v37
	v_add_f16_e32 v48, v49, v78
	v_sub_f16_e32 v49, v49, v78
	v_sub_f16_e32 v78, v83, v88
	v_add_f16_e32 v38, v38, v80
	v_mul_f16_e32 v80, 0xbbeb, v78
	v_add_f16_e32 v79, v83, v88
	v_fma_f16 v83, v48, s7, -v80
	v_mul_f16_e32 v88, 0xbbeb, v49
	v_fma_f16 v80, v48, s7, v80
	v_add_f16_e32 v83, v83, v89
	v_fma_f16 v89, v79, s7, v88
	v_add_f16_e32 v80, v80, v82
	v_fma_f16 v82, v79, s7, -v88
	v_mul_f16_e32 v88, 0x3482, v78
	v_add_f16_e32 v82, v82, v90
	v_fma_f16 v90, v48, s17, -v88
	v_mul_f16_e32 v92, 0x3482, v49
	v_fma_f16 v88, v48, s17, v88
	v_add_f16_e32 v89, v89, v93
	v_fma_f16 v93, v79, s17, v92
	v_add_f16_e32 v88, v88, v91
	v_fma_f16 v91, v79, s17, -v92
	v_mul_f16_e32 v92, 0x3b47, v78
	v_add_f16_e32 v90, v90, v94
	v_fma_f16 v94, v48, s6, -v92
	v_fma_f16 v92, v48, s6, v92
	v_add_f16_e32 v91, v91, v95
	v_mul_f16_e32 v95, 0x3b47, v49
	v_add_f16_e32 v92, v92, v96
	v_mul_f16_e32 v96, 0xb853, v78
	v_add_f16_e32 v93, v93, v97
	v_add_f16_e32 v94, v94, v98
	v_fma_f16 v97, v79, s6, v95
	v_fma_f16 v95, v79, s6, -v95
	v_fma_f16 v98, v48, s15, -v96
	v_fma_f16 v96, v48, s15, v96
	v_mul_f16_e32 v78, 0xba0c, v78
	v_add_f16_e32 v95, v95, v99
	v_mul_f16_e32 v99, 0xb853, v49
	v_add_f16_e32 v96, v96, v100
	v_fma_f16 v100, v48, s16, -v78
	v_mul_f16_e32 v49, 0xba0c, v49
	v_fma_f16 v48, v48, s16, v78
	v_add_f16_e32 v38, v48, v38
	v_fma_f16 v48, v79, s16, -v49
	v_add_f16_e32 v37, v48, v37
	v_add_f16_e32 v48, v50, v77
	v_sub_f16_e32 v50, v50, v77
	v_sub_f16_e32 v77, v84, v87
	v_mul_f16_e32 v78, 0xba0c, v77
	v_add_f16_e32 v97, v97, v101
	v_add_f16_e32 v98, v98, v102
	v_fma_f16 v101, v79, s15, v99
	v_fma_f16 v99, v79, s15, -v99
	v_fma_f16 v102, v79, s16, v49
	v_fma_f16 v79, v48, s16, -v78
	v_add_f16_e32 v49, v84, v87
	v_add_f16_e32 v79, v79, v83
	v_mul_f16_e32 v83, 0xba0c, v50
	v_fma_f16 v78, v48, s16, v78
	v_add_f16_e32 v78, v78, v80
	v_fma_f16 v80, v49, s16, -v83
	v_add_f16_e32 v80, v80, v82
	v_mul_f16_e32 v82, 0x3beb, v77
	v_fma_f16 v84, v49, s16, v83
	v_fma_f16 v83, v48, s7, -v82
	v_fma_f16 v82, v48, s7, v82
	v_mul_f16_e32 v87, 0x3beb, v50
	v_add_f16_e32 v82, v82, v88
	v_mul_f16_e32 v88, 0xb853, v77
	v_add_f16_e32 v84, v84, v89
	v_add_f16_e32 v83, v83, v90
	v_fma_f16 v89, v49, s7, v87
	v_fma_f16 v87, v49, s7, -v87
	v_fma_f16 v90, v48, s15, -v88
	v_fma_f16 v88, v48, s15, v88
	v_add_f16_e32 v87, v87, v91
	v_mul_f16_e32 v91, 0xb853, v50
	v_add_f16_e32 v88, v88, v92
	v_mul_f16_e32 v92, 0xb482, v77
	v_add_f16_e32 v89, v89, v93
	v_add_f16_e32 v90, v90, v94
	v_fma_f16 v93, v49, s15, v91
	v_fma_f16 v91, v49, s15, -v91
	v_fma_f16 v94, v48, s17, -v92
	v_fma_f16 v92, v48, s17, v92
	v_mul_f16_e32 v77, 0x3b47, v77
	v_add_f16_e32 v91, v91, v95
	v_mul_f16_e32 v95, 0xb482, v50
	v_add_f16_e32 v92, v92, v96
	v_fma_f16 v96, v48, s6, -v77
	v_mul_f16_e32 v50, 0x3b47, v50
	v_fma_f16 v48, v48, s6, v77
	v_add_f16_e32 v38, v48, v38
	v_fma_f16 v48, v49, s6, -v50
	v_add_f16_e32 v94, v94, v98
	v_fma_f16 v98, v49, s6, v50
	v_add_f16_e32 v37, v48, v37
	v_add_f16_e32 v48, v51, v76
	v_sub_f16_e32 v50, v51, v76
	v_sub_f16_e32 v51, v85, v86
	v_mul_f16_e32 v76, 0xb482, v51
	v_fma_f16 v77, v48, s17, -v76
	v_add_f16_e32 v93, v93, v97
	v_fma_f16 v97, v49, s17, v95
	v_fma_f16 v95, v49, s17, -v95
	v_add_f16_e32 v49, v85, v86
	v_add_f16_e32 v79, v77, v79
	v_mul_f16_e32 v77, 0xb482, v50
	v_fma_f16 v76, v48, s17, v76
	v_fma_f16 v85, v49, s17, v77
	v_add_f16_e32 v76, v76, v78
	v_fma_f16 v77, v49, s17, -v77
	v_mul_f16_e32 v78, 0x3853, v51
	v_add_f16_e32 v77, v77, v80
	v_fma_f16 v80, v48, s15, -v78
	v_add_f16_e32 v80, v80, v83
	v_mul_f16_e32 v83, 0x3853, v50
	v_fma_f16 v78, v48, s15, v78
	v_add_f16_e32 v84, v85, v84
	v_fma_f16 v85, v49, s15, v83
	v_add_f16_e32 v78, v78, v82
	v_fma_f16 v82, v49, s15, -v83
	v_mul_f16_e32 v83, 0xba0c, v51
	v_fma_f16 v86, v48, s16, -v83
	v_fma_f16 v83, v48, s16, v83
	v_add_f16_e32 v82, v82, v87
	v_mul_f16_e32 v87, 0xba0c, v50
	v_add_f16_e32 v83, v83, v88
	v_mul_f16_e32 v88, 0x3b47, v51
	v_add_f16_e32 v85, v85, v89
	v_add_f16_e32 v86, v86, v90
	v_fma_f16 v89, v49, s16, v87
	v_fma_f16 v87, v49, s16, -v87
	v_fma_f16 v90, v48, s6, -v88
	v_fma_f16 v88, v48, s6, v88
	v_mul_f16_e32 v51, 0xbbeb, v51
	v_add_f16_e32 v105, v105, v107
	v_add_f16_e32 v104, v104, v108
	;; [unrolled: 1-line block ×4, first 2 shown]
	v_mul_f16_e32 v91, 0x3b47, v50
	v_add_f16_e32 v88, v88, v92
	v_fma_f16 v92, v48, s7, -v51
	v_mul_f16_e32 v50, 0xbbeb, v50
	v_fma_f16 v48, v48, s7, v51
	v_add_f16_e32 v101, v101, v105
	v_add_f16_e32 v99, v99, v103
	;; [unrolled: 1-line block ×5, first 2 shown]
	v_fma_f16 v48, v49, s7, -v50
	v_add_f16_e32 v97, v97, v101
	v_add_f16_e32 v95, v95, v99
	;; [unrolled: 1-line block ×6, first 2 shown]
	v_fma_f16 v93, v49, s6, v91
	v_fma_f16 v91, v49, s6, -v91
	v_fma_f16 v94, v49, s7, v50
	v_add_f16_e32 v37, v48, v37
	v_pack_b32_f16 v48, v52, v81
	v_pack_b32_f16 v49, v79, v84
	v_add_f16_e32 v93, v93, v97
	v_add_f16_e32 v91, v91, v95
	;; [unrolled: 1-line block ×4, first 2 shown]
	ds_write2_b32 v53, v48, v49 offset1:182
	v_pack_b32_f16 v48, v80, v85
	v_pack_b32_f16 v49, v86, v89
	ds_write2_b32 v40, v48, v49 offset0:44 offset1:226
	v_pack_b32_f16 v48, v90, v93
	v_pack_b32_f16 v49, v92, v94
	;; [unrolled: 1-line block ×4, first 2 shown]
	ds_write2_b32 v41, v48, v49 offset0:24 offset1:206
	ds_write2_b32 v44, v37, v38 offset0:68 offset1:250
	v_pack_b32_f16 v37, v83, v87
	v_pack_b32_f16 v38, v78, v82
	ds_write2_b32 v46, v37, v38 offset0:48 offset1:230
	v_pack_b32_f16 v37, v76, v77
	ds_write_b32 v53, v37 offset:7280
	v_add_co_u32_e32 v37, vcc, s14, v28
	v_addc_co_u32_e32 v38, vcc, 0, v39, vcc
	s_waitcnt lgkmcnt(0)
	s_barrier
	global_load_dword v41, v[37:38], off offset:3912
	s_movk_i32 s6, 0x1f48
	v_add_co_u32_e32 v37, vcc, s6, v28
	v_addc_co_u32_e32 v38, vcc, 0, v39, vcc
	s_movk_i32 s6, 0x3000
	v_add_co_u32_e32 v48, vcc, s6, v28
	v_addc_co_u32_e32 v49, vcc, 0, v39, vcc
	global_load_dword v44, v[48:49], off offset:452
	global_load_dword v46, v[48:49], off offset:1180
	;; [unrolled: 1-line block ×9, first 2 shown]
	ds_read2_b32 v[48:49], v53 offset1:182
	s_waitcnt lgkmcnt(0)
	v_lshrrev_b32_e32 v39, 16, v48
	s_waitcnt vmcnt(9)
	v_mul_f16_sdwa v50, v39, v41 dst_sel:DWORD dst_unused:UNUSED_PAD src0_sel:DWORD src1_sel:WORD_1
	v_fma_f16 v50, v48, v41, -v50
	v_mul_f16_sdwa v48, v48, v41 dst_sel:DWORD dst_unused:UNUSED_PAD src0_sel:DWORD src1_sel:WORD_1
	v_fma_f16 v39, v39, v41, v48
	v_pack_b32_f16 v39, v50, v39
	ds_write_b32 v53, v39
	v_add_u32_e32 v39, 0xf00, v53
	ds_read2_b32 v[50:51], v39 offset0:41 offset1:223
	s_waitcnt lgkmcnt(0)
	v_lshrrev_b32_e32 v41, 16, v50
	s_waitcnt vmcnt(6)
	v_mul_f16_sdwa v48, v41, v52 dst_sel:DWORD dst_unused:UNUSED_PAD src0_sel:DWORD src1_sel:WORD_1
	v_fma_f16 v48, v50, v52, -v48
	v_mul_f16_sdwa v50, v50, v52 dst_sel:DWORD dst_unused:UNUSED_PAD src0_sel:DWORD src1_sel:WORD_1
	v_fma_f16 v41, v41, v52, v50
	v_pack_b32_f16 v41, v48, v41
	v_lshrrev_b32_e32 v48, 16, v49
	s_waitcnt vmcnt(5)
	v_mul_f16_sdwa v50, v48, v78 dst_sel:DWORD dst_unused:UNUSED_PAD src0_sel:DWORD src1_sel:WORD_1
	v_fma_f16 v50, v49, v78, -v50
	v_mul_f16_sdwa v49, v49, v78 dst_sel:DWORD dst_unused:UNUSED_PAD src0_sel:DWORD src1_sel:WORD_1
	v_fma_f16 v48, v48, v78, v49
	v_pack_b32_f16 v52, v50, v48
	v_lshrrev_b32_e32 v50, 16, v51
	v_mul_f16_sdwa v48, v50, v44 dst_sel:DWORD dst_unused:UNUSED_PAD src0_sel:DWORD src1_sel:WORD_1
	v_fma_f16 v78, v51, v44, -v48
	ds_read2_b32 v[48:49], v40 offset0:44 offset1:226
	v_mul_f16_sdwa v51, v51, v44 dst_sel:DWORD dst_unused:UNUSED_PAD src0_sel:DWORD src1_sel:WORD_1
	v_fma_f16 v44, v50, v44, v51
	v_pack_b32_f16 v44, v78, v44
	ds_write2_b32 v39, v41, v44 offset0:41 offset1:223
	s_waitcnt lgkmcnt(1)
	v_lshrrev_b32_e32 v44, 16, v48
	s_waitcnt vmcnt(4)
	v_mul_f16_sdwa v41, v44, v79 dst_sel:DWORD dst_unused:UNUSED_PAD src0_sel:DWORD src1_sel:WORD_1
	v_fma_f16 v78, v48, v79, -v41
	v_add_u32_e32 v41, 0x1500, v53
	ds_read2_b32 v[50:51], v41 offset0:21 offset1:203
	v_mul_f16_sdwa v48, v48, v79 dst_sel:DWORD dst_unused:UNUSED_PAD src0_sel:DWORD src1_sel:WORD_1
	v_fma_f16 v44, v44, v79, v48
	v_pack_b32_f16 v44, v78, v44
	v_add_u32_e32 v48, 0x200, v53
	ds_write2_b32 v48, v52, v44 offset0:54 offset1:236
	s_waitcnt lgkmcnt(1)
	v_lshrrev_b32_e32 v44, 16, v50
	v_mul_f16_sdwa v48, v44, v46 dst_sel:DWORD dst_unused:UNUSED_PAD src0_sel:DWORD src1_sel:WORD_1
	v_fma_f16 v48, v50, v46, -v48
	v_mul_f16_sdwa v50, v50, v46 dst_sel:DWORD dst_unused:UNUSED_PAD src0_sel:DWORD src1_sel:WORD_1
	v_fma_f16 v44, v44, v46, v50
	v_lshrrev_b32_e32 v46, 16, v49
	v_pack_b32_f16 v44, v48, v44
	s_waitcnt vmcnt(3)
	v_mul_f16_sdwa v48, v46, v80 dst_sel:DWORD dst_unused:UNUSED_PAD src0_sel:DWORD src1_sel:WORD_1
	v_fma_f16 v48, v49, v80, -v48
	v_mul_f16_sdwa v49, v49, v80 dst_sel:DWORD dst_unused:UNUSED_PAD src0_sel:DWORD src1_sel:WORD_1
	v_fma_f16 v46, v46, v80, v49
	v_pack_b32_f16 v46, v48, v46
	v_lshrrev_b32_e32 v48, 16, v51
	s_waitcnt vmcnt(2)
	v_mul_f16_sdwa v49, v48, v81 dst_sel:DWORD dst_unused:UNUSED_PAD src0_sel:DWORD src1_sel:WORD_1
	v_fma_f16 v49, v51, v81, -v49
	v_mul_f16_sdwa v50, v51, v81 dst_sel:DWORD dst_unused:UNUSED_PAD src0_sel:DWORD src1_sel:WORD_1
	ds_read_b32 v51, v53 offset:2912
	v_fma_f16 v48, v48, v81, v50
	v_pack_b32_f16 v48, v49, v48
	ds_write2_b32 v41, v44, v48 offset0:21 offset1:203
	ds_read_b32 v44, v53 offset:6916
	s_waitcnt lgkmcnt(2)
	v_lshrrev_b32_e32 v48, 16, v51
	s_waitcnt vmcnt(1)
	v_mul_f16_sdwa v49, v48, v82 dst_sel:DWORD dst_unused:UNUSED_PAD src0_sel:DWORD src1_sel:WORD_1
	v_mul_f16_sdwa v50, v51, v82 dst_sel:DWORD dst_unused:UNUSED_PAD src0_sel:DWORD src1_sel:WORD_1
	v_fma_f16 v49, v51, v82, -v49
	v_fma_f16 v48, v48, v82, v50
	v_pack_b32_f16 v48, v49, v48
	v_add_u32_e32 v49, 0x800, v53
	ds_write2_b32 v49, v46, v48 offset0:34 offset1:216
	s_waitcnt lgkmcnt(1)
	v_lshrrev_b32_e32 v46, 16, v44
	s_waitcnt vmcnt(0)
	v_mul_f16_sdwa v48, v46, v83 dst_sel:DWORD dst_unused:UNUSED_PAD src0_sel:DWORD src1_sel:WORD_1
	v_fma_f16 v48, v44, v83, -v48
	v_mul_f16_sdwa v44, v44, v83 dst_sel:DWORD dst_unused:UNUSED_PAD src0_sel:DWORD src1_sel:WORD_1
	v_fma_f16 v44, v46, v83, v44
	v_pack_b32_f16 v44, v48, v44
	ds_write_b32 v53, v44 offset:6916
	s_and_saveexec_b64 s[6:7], s[0:1]
	s_cbranch_execz .LBB0_17
; %bb.16:
	global_load_dword v44, v[37:38], off offset:3640
	v_add_co_u32_e32 v37, vcc, 0x1000, v37
	v_addc_co_u32_e32 v38, vcc, 0, v38, vcc
	global_load_dword v37, v[37:38], off offset:3548
	ds_read_b32 v38, v53 offset:3640
	ds_read_b32 v46, v53 offset:7644
	s_waitcnt lgkmcnt(1)
	v_lshrrev_b32_e32 v48, 16, v38
	s_waitcnt lgkmcnt(0)
	v_lshrrev_b32_e32 v49, 16, v46
	s_waitcnt vmcnt(1)
	v_mul_f16_sdwa v50, v48, v44 dst_sel:DWORD dst_unused:UNUSED_PAD src0_sel:DWORD src1_sel:WORD_1
	v_mul_f16_sdwa v51, v38, v44 dst_sel:DWORD dst_unused:UNUSED_PAD src0_sel:DWORD src1_sel:WORD_1
	v_fma_f16 v38, v38, v44, -v50
	v_fma_f16 v44, v48, v44, v51
	v_pack_b32_f16 v38, v38, v44
	s_waitcnt vmcnt(0)
	v_mul_f16_sdwa v44, v49, v37 dst_sel:DWORD dst_unused:UNUSED_PAD src0_sel:DWORD src1_sel:WORD_1
	v_mul_f16_sdwa v48, v46, v37 dst_sel:DWORD dst_unused:UNUSED_PAD src0_sel:DWORD src1_sel:WORD_1
	ds_write_b32 v53, v38 offset:3640
	v_fma_f16 v38, v46, v37, -v44
	v_fma_f16 v37, v49, v37, v48
	v_pack_b32_f16 v37, v38, v37
	ds_write_b32 v53, v37 offset:7644
.LBB0_17:
	s_or_b64 exec, exec, s[6:7]
	s_waitcnt lgkmcnt(0)
	s_barrier
	ds_read2_b32 v[51:52], v53 offset1:182
	ds_read2_b32 v[38:39], v39 offset0:41 offset1:223
	ds_read2_b32 v[49:50], v40 offset0:44 offset1:226
	;; [unrolled: 1-line block ×3, first 2 shown]
	ds_read_b32 v78, v53 offset:2912
	ds_read_b32 v37, v53 offset:6916
	v_add_u32_e32 v83, 0xb60, v42
	v_add_u32_e32 v80, 0x1110, v42
	;; [unrolled: 1-line block ×3, first 2 shown]
	s_and_saveexec_b64 s[6:7], s[0:1]
	s_cbranch_execz .LBB0_19
; %bb.18:
	ds_read_b32 v76, v53 offset:3640
	ds_read_b32 v47, v53 offset:7644
	s_waitcnt lgkmcnt(1)
	v_lshrrev_b32_e32 v77, 16, v76
	s_waitcnt lgkmcnt(0)
	v_lshrrev_b32_e32 v75, 16, v47
.LBB0_19:
	s_or_b64 exec, exec, s[6:7]
	s_waitcnt lgkmcnt(4)
	v_pk_add_f16 v38, v51, v38 neg_lo:[0,1] neg_hi:[0,1]
	v_pk_add_f16 v48, v52, v39 neg_lo:[0,1] neg_hi:[0,1]
	s_waitcnt lgkmcnt(2)
	v_pk_add_f16 v46, v49, v40 neg_lo:[0,1] neg_hi:[0,1]
	v_pk_add_f16 v44, v50, v41 neg_lo:[0,1] neg_hi:[0,1]
	s_waitcnt lgkmcnt(0)
	v_pk_add_f16 v42, v78, v37 neg_lo:[0,1] neg_hi:[0,1]
	v_sub_f16_e32 v40, v76, v47
	v_sub_f16_e32 v82, v77, v75
	v_pk_fma_f16 v37, v51, 2.0, v38 op_sel_hi:[1,0,1] neg_lo:[0,0,1] neg_hi:[0,0,1]
	v_pk_fma_f16 v47, v52, 2.0, v48 op_sel_hi:[1,0,1] neg_lo:[0,0,1] neg_hi:[0,0,1]
	v_fma_f16 v39, v76, 2.0, -v40
	v_fma_f16 v81, v77, 2.0, -v82
	s_barrier
	ds_write_b64 v43, v[37:38]
	ds_write_b64 v45, v[47:48]
	v_pk_fma_f16 v45, v49, 2.0, v46 op_sel_hi:[1,0,1] neg_lo:[0,0,1] neg_hi:[0,0,1]
	v_pk_fma_f16 v43, v50, 2.0, v44 op_sel_hi:[1,0,1] neg_lo:[0,0,1] neg_hi:[0,0,1]
	v_pk_fma_f16 v41, v78, 2.0, v42 op_sel_hi:[1,0,1] neg_lo:[0,0,1] neg_hi:[0,0,1]
	ds_write_b64 v83, v[45:46]
	ds_write_b64 v80, v[43:44]
	;; [unrolled: 1-line block ×3, first 2 shown]
	s_and_saveexec_b64 s[6:7], s[0:1]
	s_cbranch_execz .LBB0_21
; %bb.20:
	s_mov_b32 s14, 0x5040100
	v_perm_b32 v50, v82, v40, s14
	v_perm_b32 v49, v81, v39, s14
	ds_write_b64 v69, v[49:50]
.LBB0_21:
	s_or_b64 exec, exec, s[6:7]
	v_lshrrev_b32_e32 v52, 16, v47
	v_lshrrev_b32_e32 v75, 16, v45
	;; [unrolled: 1-line block ×5, first 2 shown]
	s_waitcnt lgkmcnt(0)
	s_barrier
	s_and_saveexec_b64 s[6:7], s[2:3]
	s_cbranch_execz .LBB0_23
; %bb.22:
	v_add_u32_e32 v39, 0x400, v53
	ds_read2_b32 v[47:48], v39 offset0:52 offset1:206
	v_add_u32_e32 v39, 0x900, v53
	ds_read2_b32 v[45:46], v39 offset0:40 offset1:194
	;; [unrolled: 2-line block ×4, first 2 shown]
	v_add_u32_e32 v39, 0x1800, v53
	ds_read2_b32 v[37:38], v53 offset1:154
	ds_read2_b32 v[39:40], v39 offset0:4 offset1:158
	ds_read_b32 v73, v53 offset:7392
	s_waitcnt lgkmcnt(6)
	v_lshrrev_b32_e32 v52, 16, v47
	s_waitcnt lgkmcnt(5)
	v_lshrrev_b32_e32 v75, 16, v45
	s_waitcnt lgkmcnt(2)
	v_lshrrev_b32_e32 v49, 16, v37
	v_lshrrev_b32_e32 v77, 16, v43
	v_lshrrev_b32_e32 v79, 16, v41
	s_waitcnt lgkmcnt(1)
	v_lshrrev_b32_e32 v81, 16, v39
	v_lshrrev_b32_e32 v82, 16, v40
	s_waitcnt lgkmcnt(0)
	v_lshrrev_b32_e32 v74, 16, v73
.LBB0_23:
	s_or_b64 exec, exec, s[6:7]
	v_lshrrev_b32_e32 v51, 16, v38
	v_mul_f16_sdwa v50, v0, v51 dst_sel:DWORD dst_unused:UNUSED_PAD src0_sel:WORD_1 src1_sel:DWORD
	v_fma_f16 v50, v0, v38, v50
	v_mul_f16_sdwa v38, v0, v38 dst_sel:DWORD dst_unused:UNUSED_PAD src0_sel:WORD_1 src1_sel:DWORD
	v_fma_f16 v38, v0, v51, -v38
	v_mul_f16_sdwa v0, v1, v52 dst_sel:DWORD dst_unused:UNUSED_PAD src0_sel:WORD_1 src1_sel:DWORD
	v_fma_f16 v51, v1, v47, v0
	v_mul_f16_sdwa v0, v1, v47 dst_sel:DWORD dst_unused:UNUSED_PAD src0_sel:WORD_1 src1_sel:DWORD
	v_fma_f16 v47, v1, v52, -v0
	v_lshrrev_b32_e32 v0, 16, v48
	v_mul_f16_sdwa v1, v2, v0 dst_sel:DWORD dst_unused:UNUSED_PAD src0_sel:WORD_1 src1_sel:DWORD
	v_fma_f16 v52, v2, v48, v1
	v_mul_f16_sdwa v1, v2, v48 dst_sel:DWORD dst_unused:UNUSED_PAD src0_sel:WORD_1 src1_sel:DWORD
	v_fma_f16 v48, v2, v0, -v1
	v_mul_f16_sdwa v0, v3, v75 dst_sel:DWORD dst_unused:UNUSED_PAD src0_sel:WORD_1 src1_sel:DWORD
	v_fma_f16 v69, v3, v45, v0
	v_mul_f16_sdwa v0, v3, v45 dst_sel:DWORD dst_unused:UNUSED_PAD src0_sel:WORD_1 src1_sel:DWORD
	v_fma_f16 v45, v3, v75, -v0
	;; [unrolled: 9-line block ×5, first 2 shown]
	v_mul_f16_sdwa v0, v10, v82 dst_sel:DWORD dst_unused:UNUSED_PAD src0_sel:WORD_1 src1_sel:DWORD
	v_fma_f16 v81, v10, v40, v0
	v_mul_f16_sdwa v0, v10, v40 dst_sel:DWORD dst_unused:UNUSED_PAD src0_sel:WORD_1 src1_sel:DWORD
	v_fma_f16 v40, v10, v82, -v0
	v_mul_f16_sdwa v0, v11, v74 dst_sel:DWORD dst_unused:UNUSED_PAD src0_sel:WORD_1 src1_sel:DWORD
	v_fma_f16 v82, v11, v73, v0
	v_mul_f16_sdwa v0, v11, v73 dst_sel:DWORD dst_unused:UNUSED_PAD src0_sel:WORD_1 src1_sel:DWORD
	v_fma_f16 v73, v11, v74, -v0
	v_sub_f16_e32 v1, v38, v73
	v_add_f16_e32 v118, v82, v50
	v_add_f16_e32 v0, v73, v38
	s_movk_i32 s14, 0x3b15
	v_mul_f16_e32 v74, 0xb770, v1
	v_sub_f16_e32 v94, v47, v40
	v_sub_f16_e32 v119, v50, v82
	s_mov_b32 s6, 0xb770
	v_mul_f16_e32 v83, 0x3b15, v0
	v_fma_f16 v2, v118, s14, -v74
	s_movk_i32 s7, 0x388b
	v_add_f16_e32 v132, v81, v51
	v_add_f16_e32 v91, v40, v47
	v_mul_f16_e32 v86, 0xba95, v94
	v_add_f16_e32 v2, v37, v2
	v_fma_f16 v3, v119, s6, v83
	s_mov_b32 s19, 0xba95
	v_sub_f16_e32 v133, v51, v81
	v_mul_f16_e32 v87, 0x388b, v91
	v_fma_f16 v90, v132, s7, -v86
	v_add_f16_e32 v3, v49, v3
	v_mul_f16_e32 v84, 0xba95, v1
	v_add_f16_e32 v2, v90, v2
	v_fma_f16 v90, v133, s19, v87
	v_mul_f16_e32 v85, 0x388b, v0
	v_fma_f16 v4, v118, s7, -v84
	s_mov_b32 s16, 0xb5ac
	v_add_f16_e32 v3, v90, v3
	v_mul_f16_e32 v90, 0xbb7b, v94
	v_add_f16_e32 v4, v37, v4
	v_fma_f16 v5, v119, s19, v85
	s_mov_b32 s15, 0xbb7b
	v_mul_f16_e32 v92, 0xb5ac, v91
	v_fma_f16 v95, v132, s16, -v90
	v_add_f16_e32 v5, v49, v5
	s_movk_i32 s6, 0x2fb7
	v_mul_f16_e32 v88, 0xbbf1, v1
	v_add_f16_e32 v4, v95, v4
	v_fma_f16 v95, v133, s15, v92
	s_mov_b32 s20, 0xbbf1
	v_mul_f16_e32 v89, 0x2fb7, v0
	v_fma_f16 v6, v118, s6, -v88
	s_mov_b32 s21, 0xbbc4
	v_add_f16_e32 v5, v95, v5
	v_mul_f16_e32 v95, 0xb3a8, v94
	v_add_f16_e32 v6, v37, v6
	v_fma_f16 v7, v119, s20, v89
	v_mul_f16_e32 v93, 0xbb7b, v1
	s_mov_b32 s22, 0xb3a8
	v_mul_f16_e32 v98, 0xbbc4, v91
	v_fma_f16 v97, v132, s21, -v95
	v_add_f16_e32 v7, v49, v7
	v_mul_f16_e32 v96, 0xb5ac, v0
	v_fma_f16 v8, v118, s16, -v93
	s_mov_b32 s18, 0xb9fd
	v_mul_f16_e32 v108, 0xb3a8, v1
	v_add_f16_e32 v6, v97, v6
	v_fma_f16 v97, v133, s22, v98
	v_mul_f16_e32 v102, 0x394e, v94
	v_add_f16_e32 v8, v37, v8
	v_fma_f16 v9, v119, s15, v96
	v_mul_f16_e32 v99, 0xb94e, v1
	v_mul_f16_e32 v103, 0xb9fd, v0
	v_mul_f16_e32 v113, 0xbbc4, v0
	v_fma_f16 v0, v118, s21, -v108
	v_add_f16_e32 v7, v97, v7
	s_movk_i32 s23, 0x394e
	v_mul_f16_e32 v106, 0xb9fd, v91
	v_fma_f16 v97, v132, s18, -v102
	v_mul_f16_e32 v122, 0x3770, v94
	v_add_f16_e32 v9, v49, v9
	s_mov_b32 s17, 0xb94e
	v_fma_f16 v10, v118, s18, -v99
	v_add_f16_e32 v0, v37, v0
	v_fma_f16 v1, v119, s22, v113
	v_add_f16_e32 v8, v97, v8
	v_fma_f16 v97, v133, s23, v106
	v_mul_f16_e32 v111, 0x3bf1, v94
	v_mul_f16_e32 v116, 0x2fb7, v91
	s_movk_i32 s25, 0x3770
	v_mul_f16_e32 v127, 0x3b15, v91
	v_fma_f16 v91, v132, s14, -v122
	v_add_f16_e32 v10, v37, v10
	v_fma_f16 v11, v119, s17, v103
	v_add_f16_e32 v1, v49, v1
	v_add_f16_e32 v9, v97, v9
	s_movk_i32 s24, 0x3bf1
	v_fma_f16 v97, v132, s6, -v111
	v_add_f16_e32 v0, v91, v0
	v_fma_f16 v91, v133, s25, v127
	v_sub_f16_e32 v104, v48, v39
	v_add_f16_e32 v11, v49, v11
	v_add_f16_e32 v10, v97, v10
	v_fma_f16 v97, v133, s24, v116
	v_add_f16_e32 v1, v91, v1
	v_add_f16_e32 v142, v80, v52
	;; [unrolled: 1-line block ×3, first 2 shown]
	v_mul_f16_e32 v91, 0xbbf1, v104
	v_add_f16_e32 v11, v97, v11
	v_sub_f16_e32 v143, v52, v80
	v_mul_f16_e32 v94, 0x2fb7, v100
	v_fma_f16 v97, v142, s6, -v91
	v_add_f16_e32 v2, v97, v2
	v_fma_f16 v97, v143, s20, v94
	v_add_f16_e32 v3, v97, v3
	v_mul_f16_e32 v97, 0xb3a8, v104
	v_mul_f16_e32 v101, 0xbbc4, v100
	v_fma_f16 v105, v142, s21, -v97
	v_add_f16_e32 v4, v105, v4
	v_fma_f16 v105, v143, s22, v101
	v_add_f16_e32 v5, v105, v5
	v_mul_f16_e32 v105, 0x3b7b, v104
	s_movk_i32 s26, 0x3b7b
	v_mul_f16_e32 v109, 0xb5ac, v100
	v_fma_f16 v107, v142, s16, -v105
	v_add_f16_e32 v6, v107, v6
	v_fma_f16 v107, v143, s26, v109
	v_mul_f16_e32 v114, 0x3770, v104
	v_add_f16_e32 v7, v107, v7
	v_mul_f16_e32 v120, 0x3b15, v100
	v_fma_f16 v107, v142, s14, -v114
	v_mul_f16_e32 v136, 0xb94e, v104
	v_add_f16_e32 v8, v107, v8
	v_fma_f16 v107, v143, s25, v120
	v_mul_f16_e32 v125, 0xba95, v104
	v_mul_f16_e32 v130, 0x388b, v100
	v_mul_f16_e32 v140, 0xb9fd, v100
	v_fma_f16 v100, v142, s18, -v136
	v_add_f16_e32 v9, v107, v9
	v_fma_f16 v107, v142, s7, -v125
	v_add_f16_e32 v0, v100, v0
	v_fma_f16 v100, v143, s17, v140
	v_sub_f16_e32 v115, v45, v42
	v_add_f16_e32 v10, v107, v10
	v_fma_f16 v107, v143, s19, v130
	v_add_f16_e32 v1, v100, v1
	v_add_f16_e32 v150, v79, v69
	v_add_f16_e32 v110, v42, v45
	v_mul_f16_e32 v100, 0xbb7b, v115
	v_add_f16_e32 v11, v107, v11
	v_sub_f16_e32 v151, v69, v79
	v_mul_f16_e32 v104, 0xb5ac, v110
	v_fma_f16 v107, v150, s16, -v100
	v_add_f16_e32 v2, v107, v2
	v_fma_f16 v107, v151, s15, v104
	v_add_f16_e32 v3, v107, v3
	v_mul_f16_e32 v107, 0x394e, v115
	v_mul_f16_e32 v112, 0xb9fd, v110
	v_fma_f16 v117, v150, s18, -v107
	v_add_f16_e32 v4, v117, v4
	v_fma_f16 v117, v151, s23, v112
	v_add_f16_e32 v5, v117, v5
	v_mul_f16_e32 v117, 0x3770, v115
	v_mul_f16_e32 v123, 0x3b15, v110
	v_fma_f16 v121, v150, s14, -v117
	v_add_f16_e32 v6, v121, v6
	v_fma_f16 v121, v151, s25, v123
	v_mul_f16_e32 v128, 0xbbf1, v115
	v_add_f16_e32 v7, v121, v7
	v_mul_f16_e32 v134, 0x2fb7, v110
	v_fma_f16 v121, v150, s6, -v128
	v_mul_f16_e32 v148, 0x3a95, v115
	v_add_f16_e32 v8, v121, v8
	v_fma_f16 v121, v151, s20, v134
	v_mul_f16_e32 v138, 0x33a8, v115
	v_mul_f16_e32 v144, 0xbbc4, v110
	s_movk_i32 s23, 0x3a95
	v_mul_f16_e32 v152, 0x388b, v110
	v_fma_f16 v110, v150, s7, -v148
	v_add_f16_e32 v9, v121, v9
	s_movk_i32 s20, 0x33a8
	v_fma_f16 v121, v150, s21, -v138
	v_add_f16_e32 v0, v110, v0
	v_fma_f16 v110, v151, s23, v152
	v_sub_f16_e32 v129, v46, v41
	v_add_f16_e32 v10, v121, v10
	v_fma_f16 v121, v151, s20, v144
	v_add_f16_e32 v1, v110, v1
	v_add_f16_e32 v157, v78, v75
	;; [unrolled: 1-line block ×3, first 2 shown]
	v_mul_f16_e32 v110, 0xb94e, v129
	v_add_f16_e32 v11, v121, v11
	v_sub_f16_e32 v158, v75, v78
	v_mul_f16_e32 v115, 0xb9fd, v124
	v_fma_f16 v121, v157, s18, -v110
	v_add_f16_e32 v2, v121, v2
	v_fma_f16 v121, v158, s17, v115
	v_add_f16_e32 v3, v121, v3
	v_mul_f16_e32 v121, 0x3bf1, v129
	v_mul_f16_e32 v126, 0x2fb7, v124
	v_fma_f16 v131, v157, s6, -v121
	v_add_f16_e32 v145, v131, v4
	v_fma_f16 v4, v158, s24, v126
	v_mul_f16_e32 v131, 0xba95, v129
	v_add_f16_e32 v5, v4, v5
	v_mul_f16_e32 v137, 0x388b, v124
	v_fma_f16 v4, v157, s7, -v131
	v_add_f16_e32 v6, v4, v6
	v_fma_f16 v4, v158, s19, v137
	v_mul_f16_e32 v141, 0x33a8, v129
	v_add_f16_e32 v153, v4, v7
	;; [unrolled: 6-line block ×4, first 2 shown]
	v_mul_f16_e32 v160, 0xb5ac, v124
	v_fma_f16 v4, v157, s16, -v156
	v_sub_f16_e32 v167, v43, v44
	v_add_f16_e32 v0, v4, v0
	v_fma_f16 v4, v158, s15, v160
	v_add_f16_e32 v162, v77, v76
	v_add_f16_e32 v165, v44, v43
	v_mul_f16_e32 v124, 0xb3a8, v167
	v_add_f16_e32 v166, v4, v1
	v_sub_f16_e32 v163, v76, v77
	v_mul_f16_e32 v129, 0xbbc4, v165
	v_fma_f16 v1, v162, s21, -v124
	v_add_f16_e32 v1, v1, v2
	v_fma_f16 v2, v163, s22, v129
	v_mul_f16_e32 v135, 0x3770, v167
	v_add_f16_e32 v4, v2, v3
	v_mul_f16_e32 v139, 0x3b15, v165
	v_fma_f16 v2, v162, s14, -v135
	v_add_f16_e32 v3, v2, v145
	v_fma_f16 v2, v163, s25, v139
	v_mul_f16_e32 v145, 0xb94e, v167
	v_add_f16_e32 v7, v2, v5
	v_mul_f16_e32 v147, 0xb9fd, v165
	v_fma_f16 v2, v162, s18, -v145
	v_add_f16_e32 v5, v2, v6
	v_fma_f16 v2, v163, s17, v147
	v_add_f16_e32 v10, v2, v153
	v_mul_f16_e32 v153, 0x3a95, v167
	v_mul_f16_e32 v155, 0x388b, v165
	v_fma_f16 v2, v162, s7, -v153
	v_fma_f16 v6, v163, s23, v155
	v_mul_f16_e32 v159, 0xbb7b, v167
	v_add_f16_e32 v2, v2, v8
	v_add_f16_e32 v8, v6, v9
	v_mul_f16_e32 v161, 0xb5ac, v165
	v_fma_f16 v6, v162, s16, -v159
	v_add_f16_e32 v6, v6, v164
	v_fma_f16 v9, v163, s15, v161
	v_mul_f16_e32 v164, 0x3bf1, v167
	v_add_f16_e32 v11, v9, v11
	v_mul_f16_e32 v165, 0x2fb7, v165
	v_fma_f16 v9, v162, s6, -v164
	v_add_f16_e32 v0, v9, v0
	v_fma_f16 v9, v163, s24, v165
	v_add_f16_e32 v9, v9, v166
	s_barrier
	s_and_saveexec_b64 s[6:7], s[2:3]
	s_cbranch_execz .LBB0_25
; %bb.24:
	v_mul_f16_e32 v166, 0x3b15, v118
	v_mul_f16_e32 v168, 0x388b, v118
	;; [unrolled: 1-line block ×6, first 2 shown]
	v_add_f16_e32 v108, v118, v108
	v_add_f16_e32 v99, v174, v99
	;; [unrolled: 1-line block ×20, first 2 shown]
	v_mul_f16_e32 v167, 0xb770, v119
	v_add_f16_e32 v37, v75, v37
	v_add_f16_e32 v38, v46, v38
	v_mul_f16_e32 v169, 0xba95, v119
	v_mul_f16_e32 v171, 0xbbf1, v119
	;; [unrolled: 1-line block ×4, first 2 shown]
	v_sub_f16_e32 v83, v83, v167
	v_add_f16_e32 v37, v76, v37
	v_add_f16_e32 v38, v43, v38
	v_mul_f16_e32 v173, 0xbb7b, v119
	v_mul_f16_e32 v175, 0xb94e, v119
	;; [unrolled: 1-line block ×8, first 2 shown]
	v_sub_f16_e32 v89, v89, v171
	v_sub_f16_e32 v85, v85, v169
	v_add_f16_e32 v83, v49, v83
	v_sub_f16_e32 v87, v87, v177
	v_add_f16_e32 v86, v176, v86
	v_add_f16_e32 v37, v77, v37
	;; [unrolled: 1-line block ×3, first 2 shown]
	v_mul_f16_e32 v119, 0xb3a8, v119
	v_mul_f16_e32 v182, 0xb9fd, v132
	;; [unrolled: 1-line block ×11, first 2 shown]
	v_sub_f16_e32 v103, v103, v175
	v_sub_f16_e32 v96, v96, v173
	v_add_f16_e32 v89, v49, v89
	v_sub_f16_e32 v98, v98, v181
	v_add_f16_e32 v95, v180, v95
	v_add_f16_e32 v85, v49, v85
	v_sub_f16_e32 v92, v92, v179
	v_add_f16_e32 v90, v178, v90
	;; [unrolled: 3-line block ×3, first 2 shown]
	v_add_f16_e32 v86, v186, v91
	v_add_f16_e32 v37, v78, v37
	;; [unrolled: 1-line block ×3, first 2 shown]
	v_mul_f16_e32 v132, 0x3b15, v132
	v_mul_f16_e32 v133, 0x3770, v133
	;; [unrolled: 1-line block ×12, first 2 shown]
	v_sub_f16_e32 v113, v113, v119
	v_add_f16_e32 v103, v49, v103
	v_sub_f16_e32 v116, v116, v185
	v_add_f16_e32 v111, v184, v111
	v_add_f16_e32 v96, v49, v96
	v_sub_f16_e32 v106, v106, v183
	v_add_f16_e32 v102, v182, v102
	;; [unrolled: 3-line block ×3, first 2 shown]
	v_add_f16_e32 v95, v190, v105
	v_add_f16_e32 v85, v92, v85
	v_sub_f16_e32 v92, v101, v189
	v_add_f16_e32 v84, v90, v84
	v_add_f16_e32 v90, v188, v97
	;; [unrolled: 1-line block ×3, first 2 shown]
	v_sub_f16_e32 v87, v104, v197
	v_add_f16_e32 v74, v86, v74
	v_add_f16_e32 v86, v196, v100
	;; [unrolled: 1-line block ×4, first 2 shown]
	v_mul_f16_e32 v142, 0xb9fd, v142
	v_mul_f16_e32 v143, 0xb94e, v143
	;; [unrolled: 1-line block ×12, first 2 shown]
	v_add_f16_e32 v113, v49, v113
	v_sub_f16_e32 v119, v127, v133
	v_add_f16_e32 v118, v132, v122
	v_add_f16_e32 v103, v116, v103
	v_sub_f16_e32 v116, v130, v195
	v_add_f16_e32 v99, v111, v99
	v_add_f16_e32 v111, v194, v125
	v_add_f16_e32 v96, v106, v96
	v_sub_f16_e32 v106, v120, v193
	v_add_f16_e32 v93, v102, v93
	v_add_f16_e32 v102, v192, v114
	v_add_f16_e32 v89, v98, v89
	v_sub_f16_e32 v98, v123, v201
	v_add_f16_e32 v88, v95, v88
	v_add_f16_e32 v95, v200, v117
	v_add_f16_e32 v85, v92, v85
	v_sub_f16_e32 v92, v112, v199
	v_add_f16_e32 v84, v90, v84
	v_add_f16_e32 v90, v198, v107
	v_add_f16_e32 v83, v87, v83
	v_sub_f16_e32 v87, v115, v207
	v_add_f16_e32 v74, v86, v74
	v_add_f16_e32 v86, v206, v110
	v_add_f16_e32 v37, v80, v37
	;; [unrolled: 1-line block ×3, first 2 shown]
	v_mul_f16_e32 v150, 0x388b, v150
	v_mul_f16_e32 v151, 0x3a95, v151
	;; [unrolled: 1-line block ×10, first 2 shown]
	v_add_f16_e32 v113, v119, v113
	v_sub_f16_e32 v119, v140, v143
	v_add_f16_e32 v108, v118, v108
	v_add_f16_e32 v118, v142, v136
	v_add_f16_e32 v103, v116, v103
	v_sub_f16_e32 v116, v144, v205
	v_add_f16_e32 v99, v111, v99
	v_add_f16_e32 v111, v204, v138
	;; [unrolled: 4-line block ×6, first 2 shown]
	v_add_f16_e32 v37, v81, v37
	v_add_f16_e32 v38, v40, v38
	v_mul_u32_u24_e32 v39, 26, v66
	v_mul_f16_e32 v157, 0xb5ac, v157
	v_mul_f16_e32 v158, 0xbb7b, v158
	;; [unrolled: 1-line block ×6, first 2 shown]
	v_add_f16_e32 v113, v119, v113
	v_sub_f16_e32 v119, v152, v151
	v_add_f16_e32 v108, v118, v108
	v_add_f16_e32 v118, v150, v148
	v_add_f16_e32 v103, v116, v103
	v_sub_f16_e32 v116, v154, v215
	v_add_f16_e32 v99, v111, v99
	v_add_f16_e32 v111, v214, v149
	;; [unrolled: 4-line block ×5, first 2 shown]
	v_add_f16_e32 v83, v87, v83
	v_add_f16_e32 v74, v86, v74
	;; [unrolled: 1-line block ×4, first 2 shown]
	v_or_b32_e32 v39, v39, v65
	v_mul_f16_e32 v162, 0x2fb7, v162
	v_mul_f16_e32 v163, 0x3bf1, v163
	v_add_f16_e32 v113, v119, v113
	v_sub_f16_e32 v119, v160, v158
	v_add_f16_e32 v108, v118, v108
	v_add_f16_e32 v118, v157, v156
	v_add_f16_e32 v103, v116, v103
	v_sub_f16_e32 v116, v161, v225
	v_add_f16_e32 v99, v111, v99
	v_add_f16_e32 v111, v224, v159
	;; [unrolled: 4-line block ×3, first 2 shown]
	v_add_f16_e32 v89, v98, v89
	v_add_f16_e32 v88, v95, v88
	;; [unrolled: 1-line block ×4, first 2 shown]
	v_lshlrev_b32_e32 v39, 2, v39
	v_pack_b32_f16 v37, v37, v38
	v_pack_b32_f16 v38, v74, v83
	v_add_f16_e32 v113, v119, v113
	v_sub_f16_e32 v119, v165, v163
	v_add_f16_e32 v108, v118, v108
	v_add_f16_e32 v118, v162, v164
	;; [unrolled: 1-line block ×6, first 2 shown]
	ds_write2_b32 v39, v37, v38 offset1:2
	v_pack_b32_f16 v37, v84, v85
	v_pack_b32_f16 v38, v88, v89
	v_add_f16_e32 v113, v119, v113
	v_add_f16_e32 v108, v118, v108
	ds_write2_b32 v39, v37, v38 offset0:4 offset1:6
	v_pack_b32_f16 v37, v93, v96
	v_pack_b32_f16 v38, v99, v103
	s_mov_b32 s2, 0x5040100
	ds_write2_b32 v39, v37, v38 offset0:8 offset1:10
	v_pack_b32_f16 v37, v108, v113
	v_perm_b32 v38, v9, v0, s2
	ds_write2_b32 v39, v37, v38 offset0:12 offset1:14
	v_perm_b32 v37, v11, v6, s2
	v_perm_b32 v38, v8, v2, s2
	ds_write2_b32 v39, v37, v38 offset0:16 offset1:18
	v_perm_b32 v37, v10, v5, s2
	;; [unrolled: 3-line block ×3, first 2 shown]
	ds_write_b32 v39, v37 offset:96
.LBB0_25:
	s_or_b64 exec, exec, s[6:7]
	s_waitcnt lgkmcnt(0)
	s_barrier
	ds_read_b32 v37, v53
	ds_read_b32 v43, v53 offset:1144
	ds_read_b32 v42, v53 offset:2288
	;; [unrolled: 1-line block ×6, first 2 shown]
	s_and_saveexec_b64 s[2:3], s[4:5]
	s_cbranch_execz .LBB0_27
; %bb.26:
	ds_read_b32 v0, v53 offset:728
	ds_read_b32 v6, v53 offset:1872
	;; [unrolled: 1-line block ×7, first 2 shown]
	s_waitcnt lgkmcnt(6)
	v_lshrrev_b32_e32 v9, 16, v0
	s_waitcnt lgkmcnt(5)
	v_lshrrev_b32_e32 v11, 16, v6
	;; [unrolled: 2-line block ×7, first 2 shown]
.LBB0_27:
	s_or_b64 exec, exec, s[2:3]
	s_waitcnt lgkmcnt(5)
	v_lshrrev_b32_e32 v44, 16, v43
	v_mul_f16_sdwa v50, v16, v44 dst_sel:DWORD dst_unused:UNUSED_PAD src0_sel:WORD_1 src1_sel:DWORD
	s_waitcnt lgkmcnt(4)
	v_lshrrev_b32_e32 v45, 16, v42
	v_fma_f16 v50, v16, v43, v50
	v_mul_f16_sdwa v43, v16, v43 dst_sel:DWORD dst_unused:UNUSED_PAD src0_sel:WORD_1 src1_sel:DWORD
	v_fma_f16 v16, v16, v44, -v43
	v_mul_f16_sdwa v43, v17, v45 dst_sel:DWORD dst_unused:UNUSED_PAD src0_sel:WORD_1 src1_sel:DWORD
	s_waitcnt lgkmcnt(3)
	v_lshrrev_b32_e32 v46, 16, v41
	v_fma_f16 v43, v17, v42, v43
	v_mul_f16_sdwa v42, v17, v42 dst_sel:DWORD dst_unused:UNUSED_PAD src0_sel:WORD_1 src1_sel:DWORD
	v_fma_f16 v17, v17, v45, -v42
	;; [unrolled: 6-line block ×5, first 2 shown]
	v_mul_f16_sdwa v39, v34, v49 dst_sel:DWORD dst_unused:UNUSED_PAD src0_sel:WORD_1 src1_sel:DWORD
	v_fma_f16 v39, v34, v38, v39
	v_mul_f16_sdwa v38, v34, v38 dst_sel:DWORD dst_unused:UNUSED_PAD src0_sel:WORD_1 src1_sel:DWORD
	v_fma_f16 v34, v34, v49, -v38
	v_add_f16_e32 v38, v50, v39
	v_add_f16_e32 v44, v16, v34
	v_sub_f16_e32 v16, v16, v34
	v_add_f16_e32 v34, v43, v40
	v_add_f16_e32 v45, v17, v33
	v_sub_f16_e32 v39, v50, v39
	v_sub_f16_e32 v40, v43, v40
	;; [unrolled: 1-line block ×3, first 2 shown]
	v_add_f16_e32 v33, v42, v41
	v_add_f16_e32 v43, v18, v19
	v_sub_f16_e32 v41, v41, v42
	v_sub_f16_e32 v18, v19, v18
	v_add_f16_e32 v19, v34, v38
	v_add_f16_e32 v42, v45, v44
	v_sub_f16_e32 v46, v34, v38
	v_sub_f16_e32 v47, v45, v44
	;; [unrolled: 1-line block ×6, first 2 shown]
	v_add_f16_e32 v48, v41, v40
	v_add_f16_e32 v49, v18, v17
	v_sub_f16_e32 v50, v41, v40
	v_sub_f16_e32 v51, v18, v17
	;; [unrolled: 1-line block ×4, first 2 shown]
	v_add_f16_e32 v19, v33, v19
	v_add_f16_e32 v33, v43, v42
	v_sub_f16_e32 v41, v39, v41
	v_sub_f16_e32 v18, v16, v18
	v_add_f16_e32 v39, v48, v39
	v_add_f16_e32 v16, v49, v16
	;; [unrolled: 1-line block ×3, first 2 shown]
	v_add_f16_sdwa v37, v37, v33 dst_sel:DWORD dst_unused:UNUSED_PAD src0_sel:WORD_1 src1_sel:DWORD
	v_mul_f16_e32 v38, 0x3a52, v38
	v_mul_f16_e32 v43, 0x3a52, v44
	s_movk_i32 s17, 0x2b26
	v_mul_f16_e32 v44, 0x2b26, v34
	v_mul_f16_e32 v48, 0x2b26, v45
	;; [unrolled: 1-line block ×4, first 2 shown]
	s_mov_b32 s6, 0xbb00
	v_mul_f16_e32 v51, 0xbb00, v40
	v_mul_f16_e32 v52, 0xbb00, v17
	s_mov_b32 s18, 0xbcab
	s_movk_i32 s7, 0x39e0
	s_mov_b32 s14, 0xb9e0
	s_mov_b32 s19, 0xb574
	s_movk_i32 s15, 0x3574
	v_fma_f16 v19, v19, s18, v42
	v_fma_f16 v33, v33, s18, v37
	;; [unrolled: 1-line block ×4, first 2 shown]
	v_fma_f16 v44, v46, s7, -v44
	v_fma_f16 v48, v47, s7, -v48
	;; [unrolled: 1-line block ×4, first 2 shown]
	v_fma_f16 v46, v41, s19, v49
	v_fma_f16 v47, v18, s19, v50
	v_fma_f16 v40, v40, s6, -v49
	v_fma_f16 v17, v17, s6, -v50
	v_fma_f16 v41, v41, s15, -v51
	v_fma_f16 v18, v18, s15, -v52
	s_mov_b32 s16, 0xb70e
	v_add_f16_e32 v34, v34, v19
	v_add_f16_e32 v45, v45, v33
	;; [unrolled: 1-line block ×6, first 2 shown]
	v_fma_f16 v38, v39, s16, v46
	v_fma_f16 v43, v16, s16, v47
	;; [unrolled: 1-line block ×6, first 2 shown]
	v_add_f16_e32 v18, v43, v34
	v_sub_f16_e32 v41, v45, v38
	v_add_f16_e32 v46, v16, v19
	v_sub_f16_e32 v49, v44, v17
	v_add_f16_e32 v50, v40, v48
	v_add_f16_e32 v17, v17, v44
	v_sub_f16_e32 v40, v48, v40
	v_sub_f16_e32 v16, v19, v16
	v_add_f16_e32 v19, v39, v33
	v_sub_f16_e32 v47, v33, v39
	v_sub_f16_e32 v33, v34, v43
	v_add_f16_e32 v34, v38, v45
	v_pack_b32_f16 v37, v42, v37
	v_pack_b32_f16 v18, v18, v41
	;; [unrolled: 1-line block ×4, first 2 shown]
	s_barrier
	ds_write2_b32 v72, v37, v18 offset1:26
	v_pack_b32_f16 v18, v46, v47
	v_pack_b32_f16 v37, v49, v50
	ds_write2_b32 v72, v17, v16 offset0:104 offset1:130
	v_pack_b32_f16 v16, v33, v34
	ds_write2_b32 v72, v18, v37 offset0:52 offset1:78
	ds_write_b32 v72, v16 offset:624
	s_and_saveexec_b64 s[2:3], s[4:5]
	s_cbranch_execz .LBB0_29
; %bb.28:
	v_mul_f16_sdwa v16, v12, v11 dst_sel:DWORD dst_unused:UNUSED_PAD src0_sel:WORD_1 src1_sel:DWORD
	v_mul_f16_sdwa v38, v13, v8 dst_sel:DWORD dst_unused:UNUSED_PAD src0_sel:WORD_1 src1_sel:DWORD
	;; [unrolled: 1-line block ×3, first 2 shown]
	v_fma_f16 v16, v12, v6, v16
	v_mul_f16_sdwa v17, v32, v71 dst_sel:DWORD dst_unused:UNUSED_PAD src0_sel:WORD_1 src1_sel:DWORD
	v_mul_f16_sdwa v19, v15, v7 dst_sel:DWORD dst_unused:UNUSED_PAD src0_sel:WORD_1 src1_sel:DWORD
	;; [unrolled: 1-line block ×3, first 2 shown]
	v_fma_f16 v38, v13, v2, v38
	v_fma_f16 v39, v31, v1, v39
	v_mul_f16_sdwa v43, v32, v70 dst_sel:DWORD dst_unused:UNUSED_PAD src0_sel:WORD_1 src1_sel:DWORD
	v_mul_f16_sdwa v6, v12, v6 dst_sel:DWORD dst_unused:UNUSED_PAD src0_sel:WORD_1 src1_sel:DWORD
	;; [unrolled: 1-line block ×4, first 2 shown]
	v_fma_f16 v17, v32, v70, v17
	v_fma_f16 v19, v15, v3, v19
	v_fma_f16 v33, v14, v5, v33
	v_fma_f16 v32, v32, v71, -v43
	v_fma_f16 v6, v12, v11, -v6
	v_mul_f16_sdwa v5, v14, v5 dst_sel:DWORD dst_unused:UNUSED_PAD src0_sel:WORD_1 src1_sel:DWORD
	v_mul_f16_sdwa v3, v15, v3 dst_sel:DWORD dst_unused:UNUSED_PAD src0_sel:WORD_1 src1_sel:DWORD
	v_fma_f16 v1, v31, v4, -v1
	v_fma_f16 v2, v13, v8, -v2
	v_add_f16_e32 v11, v32, v6
	v_fma_f16 v5, v14, v10, -v5
	v_fma_f16 v3, v15, v7, -v3
	v_add_f16_e32 v4, v1, v2
	v_sub_f16_e32 v18, v16, v17
	v_sub_f16_e32 v34, v19, v33
	;; [unrolled: 1-line block ×3, first 2 shown]
	v_add_f16_e32 v7, v3, v5
	v_add_f16_e32 v13, v4, v11
	;; [unrolled: 1-line block ×4, first 2 shown]
	v_sub_f16_e32 v37, v18, v34
	v_sub_f16_e32 v41, v34, v40
	v_add_f16_e32 v34, v34, v40
	v_sub_f16_e32 v10, v11, v7
	v_sub_f16_e32 v8, v7, v4
	v_add_f16_e32 v7, v7, v13
	v_add_f16_e32 v15, v19, v33
	;; [unrolled: 1-line block ×3, first 2 shown]
	v_sub_f16_e32 v3, v3, v5
	v_sub_f16_e32 v1, v2, v1
	v_add_f16_e32 v34, v34, v18
	v_mul_f16_e32 v10, 0x3a52, v10
	v_mul_f16_e32 v12, 0x2b26, v8
	v_add_f16_e32 v9, v9, v7
	v_sub_f16_e32 v16, v14, v15
	v_sub_f16_e32 v19, v15, v17
	v_add_f16_e32 v15, v15, v33
	v_sub_f16_e32 v6, v6, v32
	v_sub_f16_e32 v2, v3, v1
	;; [unrolled: 1-line block ×4, first 2 shown]
	v_mul_f16_e32 v41, 0x3846, v41
	v_fma_f16 v8, v8, s17, v10
	v_fma_f16 v7, v7, s18, v9
	v_mul_f16_e32 v16, 0x3a52, v16
	v_mul_f16_e32 v31, 0x2b26, v19
	v_add_f16_e32 v0, v0, v15
	v_sub_f16_e32 v5, v6, v3
	v_mul_f16_e32 v2, 0x3846, v2
	v_add_f16_e32 v3, v3, v1
	v_mul_f16_e32 v38, 0xbb00, v18
	v_fma_f16 v10, v4, s14, -v10
	v_sub_f16_e32 v14, v17, v14
	v_sub_f16_e32 v1, v1, v6
	v_fma_f16 v4, v4, s7, -v12
	v_fma_f16 v42, v37, s19, v41
	v_add_f16_e32 v8, v8, v7
	v_fma_f16 v19, v19, s17, v16
	v_fma_f16 v15, v15, s18, v0
	;; [unrolled: 1-line block ×3, first 2 shown]
	v_add_f16_e32 v3, v3, v6
	v_fma_f16 v37, v37, s15, -v38
	v_add_f16_e32 v10, v10, v7
	v_mul_f16_e32 v6, 0xbb00, v1
	v_add_f16_e32 v4, v4, v7
	v_fma_f16 v7, v18, s6, -v41
	v_fma_f16 v1, v1, s6, -v2
	;; [unrolled: 1-line block ×3, first 2 shown]
	v_fma_f16 v42, v34, s16, v42
	v_add_f16_e32 v19, v19, v15
	v_fma_f16 v32, v3, s16, v32
	v_fma_f16 v37, v34, s16, v37
	v_fma_f16 v16, v14, s14, -v16
	v_fma_f16 v5, v5, s15, -v6
	v_fma_f16 v7, v34, s16, v7
	v_fma_f16 v1, v3, s16, v1
	v_add_f16_e32 v2, v2, v15
	s_movk_i32 s4, 0xb6
	v_add_f16_e32 v13, v42, v8
	v_add_f16_e32 v11, v37, v10
	v_add_f16_e32 v16, v16, v15
	v_fma_f16 v5, v3, s16, v5
	v_sub_f16_e32 v12, v4, v7
	v_add_f16_e32 v3, v1, v2
	v_add_f16_e32 v4, v7, v4
	v_sub_f16_e32 v1, v2, v1
	v_sub_f16_e32 v2, v10, v37
	;; [unrolled: 1-line block ×3, first 2 shown]
	v_add_f16_e32 v8, v32, v19
	v_mad_legacy_u16 v10, v67, s4, v68
	v_sub_f16_e32 v6, v16, v5
	v_add_f16_e32 v5, v5, v16
	v_lshlrev_b32_e32 v10, 2, v10
	v_pack_b32_f16 v0, v0, v9
	v_pack_b32_f16 v7, v8, v7
	ds_write2_b32 v10, v0, v7 offset1:26
	v_pack_b32_f16 v0, v5, v2
	v_pack_b32_f16 v1, v1, v4
	v_sub_f16_e32 v33, v19, v32
	ds_write2_b32 v10, v0, v1 offset0:52 offset1:78
	v_pack_b32_f16 v0, v3, v12
	v_pack_b32_f16 v1, v6, v11
	ds_write2_b32 v10, v0, v1 offset0:104 offset1:130
	v_pack_b32_f16 v0, v33, v13
	ds_write_b32 v10, v0 offset:624
.LBB0_29:
	s_or_b64 exec, exec, s[2:3]
	s_waitcnt lgkmcnt(0)
	s_barrier
	ds_read2_b32 v[1:2], v53 offset1:182
	v_add_u32_e32 v0, 0x500, v53
	ds_read2_b32 v[3:4], v0 offset0:44 offset1:226
	v_add_u32_e32 v11, 0xb00, v53
	ds_read2_b32 v[5:6], v11 offset0:24 offset1:206
	s_waitcnt lgkmcnt(2)
	v_lshrrev_b32_e32 v12, 16, v2
	v_mul_f16_sdwa v38, v20, v12 dst_sel:DWORD dst_unused:UNUSED_PAD src0_sel:WORD_1 src1_sel:DWORD
	s_waitcnt lgkmcnt(1)
	v_lshrrev_b32_e32 v13, 16, v3
	v_fma_f16 v38, v20, v2, v38
	v_mul_f16_sdwa v2, v20, v2 dst_sel:DWORD dst_unused:UNUSED_PAD src0_sel:WORD_1 src1_sel:DWORD
	v_fma_f16 v2, v20, v12, -v2
	v_mul_f16_sdwa v12, v21, v13 dst_sel:DWORD dst_unused:UNUSED_PAD src0_sel:WORD_1 src1_sel:DWORD
	v_lshrrev_b32_e32 v14, 16, v4
	v_add_u32_e32 v16, 0x1000, v53
	v_fma_f16 v12, v21, v3, v12
	v_mul_f16_sdwa v3, v21, v3 dst_sel:DWORD dst_unused:UNUSED_PAD src0_sel:WORD_1 src1_sel:DWORD
	ds_read2_b32 v[7:8], v16 offset0:68 offset1:250
	v_fma_f16 v3, v21, v13, -v3
	v_mul_f16_sdwa v13, v22, v14 dst_sel:DWORD dst_unused:UNUSED_PAD src0_sel:WORD_1 src1_sel:DWORD
	s_waitcnt lgkmcnt(1)
	v_lshrrev_b32_e32 v15, 16, v5
	v_fma_f16 v13, v22, v4, v13
	v_mul_f16_sdwa v4, v22, v4 dst_sel:DWORD dst_unused:UNUSED_PAD src0_sel:WORD_1 src1_sel:DWORD
	v_fma_f16 v4, v22, v14, -v4
	v_mul_f16_sdwa v14, v23, v15 dst_sel:DWORD dst_unused:UNUSED_PAD src0_sel:WORD_1 src1_sel:DWORD
	v_lshrrev_b32_e32 v18, 16, v6
	v_fma_f16 v14, v23, v5, v14
	v_mul_f16_sdwa v5, v23, v5 dst_sel:DWORD dst_unused:UNUSED_PAD src0_sel:WORD_1 src1_sel:DWORD
	v_fma_f16 v5, v23, v15, -v5
	v_mul_f16_sdwa v15, v24, v18 dst_sel:DWORD dst_unused:UNUSED_PAD src0_sel:WORD_1 src1_sel:DWORD
	v_add_u32_e32 v17, 0x1600, v53
	s_waitcnt lgkmcnt(0)
	v_lshrrev_b32_e32 v31, 16, v7
	v_fma_f16 v15, v24, v6, v15
	v_mul_f16_sdwa v6, v24, v6 dst_sel:DWORD dst_unused:UNUSED_PAD src0_sel:WORD_1 src1_sel:DWORD
	ds_read2_b32 v[9:10], v17 offset0:48 offset1:230
	v_fma_f16 v6, v24, v18, -v6
	v_mul_f16_sdwa v18, v25, v31 dst_sel:DWORD dst_unused:UNUSED_PAD src0_sel:WORD_1 src1_sel:DWORD
	ds_read_b32 v19, v53 offset:7280
	v_fma_f16 v18, v25, v7, v18
	v_mul_f16_sdwa v7, v25, v7 dst_sel:DWORD dst_unused:UNUSED_PAD src0_sel:WORD_1 src1_sel:DWORD
	v_fma_f16 v7, v25, v31, -v7
	v_add_f16_e32 v24, v1, v38
	v_add_f16_sdwa v25, v1, v2 dst_sel:DWORD dst_unused:UNUSED_PAD src0_sel:WORD_1 src1_sel:DWORD
	v_add_f16_e32 v24, v24, v12
	v_add_f16_e32 v25, v25, v3
	v_lshrrev_b32_e32 v32, 16, v8
	v_add_f16_e32 v24, v24, v13
	v_add_f16_e32 v25, v25, v4
	s_waitcnt lgkmcnt(1)
	v_lshrrev_b32_e32 v33, 16, v9
	v_mul_f16_sdwa v20, v26, v32 dst_sel:DWORD dst_unused:UNUSED_PAD src0_sel:WORD_1 src1_sel:DWORD
	v_add_f16_e32 v24, v24, v14
	v_add_f16_e32 v25, v25, v5
	v_lshrrev_b32_e32 v34, 16, v10
	s_waitcnt lgkmcnt(0)
	v_lshrrev_b32_e32 v37, 16, v19
	v_fma_f16 v20, v26, v8, v20
	v_mul_f16_sdwa v8, v26, v8 dst_sel:DWORD dst_unused:UNUSED_PAD src0_sel:WORD_1 src1_sel:DWORD
	v_mul_f16_sdwa v21, v27, v33 dst_sel:DWORD dst_unused:UNUSED_PAD src0_sel:WORD_1 src1_sel:DWORD
	v_add_f16_e32 v24, v24, v15
	v_add_f16_e32 v25, v25, v6
	v_fma_f16 v8, v26, v32, -v8
	v_fma_f16 v21, v27, v9, v21
	v_mul_f16_sdwa v9, v27, v9 dst_sel:DWORD dst_unused:UNUSED_PAD src0_sel:WORD_1 src1_sel:DWORD
	v_mul_f16_sdwa v22, v35, v34 dst_sel:DWORD dst_unused:UNUSED_PAD src0_sel:WORD_1 src1_sel:DWORD
	;; [unrolled: 1-line block ×3, first 2 shown]
	v_add_f16_e32 v24, v24, v18
	v_add_f16_e32 v25, v25, v7
	v_fma_f16 v9, v27, v33, -v9
	v_fma_f16 v22, v35, v10, v22
	v_mul_f16_sdwa v10, v35, v10 dst_sel:DWORD dst_unused:UNUSED_PAD src0_sel:WORD_1 src1_sel:DWORD
	v_fma_f16 v23, v36, v19, v23
	v_mul_f16_sdwa v19, v36, v19 dst_sel:DWORD dst_unused:UNUSED_PAD src0_sel:WORD_1 src1_sel:DWORD
	v_add_f16_e32 v24, v24, v20
	v_add_f16_e32 v25, v25, v8
	v_fma_f16 v10, v35, v34, -v10
	v_fma_f16 v19, v36, v37, -v19
	v_add_f16_e32 v24, v24, v21
	v_add_f16_e32 v25, v25, v9
	;; [unrolled: 1-line block ×5, first 2 shown]
	v_sub_f16_e32 v2, v2, v19
	v_add_f16_e32 v24, v24, v23
	v_add_f16_e32 v25, v25, v19
	;; [unrolled: 1-line block ×3, first 2 shown]
	v_sub_f16_e32 v23, v38, v23
	s_mov_b32 s7, 0xb853
	v_mul_f16_e32 v19, 0xb853, v2
	s_movk_i32 s14, 0x3abb
	v_mul_f16_e32 v32, 0x3abb, v27
	s_movk_i32 s15, 0x3853
	s_mov_b32 s3, 0xbb47
	v_mul_f16_e32 v34, 0xbb47, v2
	s_movk_i32 s4, 0x36a6
	v_mul_f16_e32 v36, 0x36a6, v27
	s_movk_i32 s5, 0x3b47
	s_mov_b32 s2, 0xbbeb
	v_mul_f16_e32 v38, 0xbbeb, v2
	s_mov_b32 s6, 0xb08e
	v_mul_f16_e32 v40, 0xb08e, v27
	s_movk_i32 s16, 0x3beb
	s_mov_b32 s17, 0xba0c
	v_mul_f16_e32 v42, 0xba0c, v2
	s_mov_b32 s18, 0xb93d
	;; [unrolled: 5-line block ×3, first 2 shown]
	v_mul_f16_e32 v27, 0xbbad, v27
	s_movk_i32 s22, 0x3482
	v_fma_f16 v31, v26, s14, v19
	v_fma_f16 v33, v23, s15, v32
	v_fma_f16 v19, v26, s14, -v19
	v_fma_f16 v32, v23, s7, v32
	v_fma_f16 v35, v26, s4, v34
	v_fma_f16 v37, v23, s5, v36
	v_fma_f16 v34, v26, s4, -v34
	v_fma_f16 v36, v23, s3, v36
	;; [unrolled: 4-line block ×5, first 2 shown]
	v_add_f16_e32 v26, v3, v10
	v_sub_f16_e32 v3, v3, v10
	v_add_f16_e32 v31, v1, v31
	v_add_f16_sdwa v33, v1, v33 dst_sel:DWORD dst_unused:UNUSED_PAD src0_sel:WORD_1 src1_sel:DWORD
	v_add_f16_e32 v19, v1, v19
	v_add_f16_sdwa v32, v1, v32 dst_sel:DWORD dst_unused:UNUSED_PAD src0_sel:WORD_1 src1_sel:DWORD
	;; [unrolled: 2-line block ×10, first 2 shown]
	v_add_f16_e32 v23, v12, v22
	v_mul_f16_e32 v10, 0xbb47, v3
	v_sub_f16_e32 v12, v12, v22
	v_fma_f16 v22, v23, s4, v10
	v_mul_f16_e32 v27, 0x36a6, v26
	v_fma_f16 v10, v23, s4, -v10
	v_add_f16_e32 v22, v22, v31
	v_fma_f16 v31, v12, s5, v27
	v_add_f16_e32 v10, v10, v19
	v_fma_f16 v19, v12, s3, v27
	v_mul_f16_e32 v27, 0xba0c, v3
	v_add_f16_e32 v31, v31, v33
	v_add_f16_e32 v19, v19, v32
	v_fma_f16 v32, v23, s18, v27
	v_mul_f16_e32 v33, 0xb93d, v26
	v_fma_f16 v27, v23, s18, -v27
	v_add_f16_e32 v32, v32, v35
	v_fma_f16 v35, v12, s19, v33
	v_add_f16_e32 v27, v27, v34
	v_fma_f16 v33, v12, s17, v33
	v_mul_f16_e32 v34, 0x3482, v3
	v_add_f16_e32 v35, v35, v37
	v_add_f16_e32 v33, v33, v36
	;; [unrolled: 10-line block ×3, first 2 shown]
	v_fma_f16 v40, v23, s6, v38
	v_mul_f16_e32 v41, 0xb08e, v26
	v_fma_f16 v38, v23, s6, -v38
	v_mul_f16_e32 v3, 0x3853, v3
	v_add_f16_e32 v40, v40, v43
	v_fma_f16 v43, v12, s2, v41
	v_add_f16_e32 v38, v38, v42
	v_fma_f16 v41, v12, s16, v41
	v_fma_f16 v42, v23, s14, v3
	v_mul_f16_e32 v26, 0x3abb, v26
	v_fma_f16 v3, v23, s14, -v3
	v_add_f16_e32 v41, v41, v44
	v_fma_f16 v44, v12, s7, v26
	v_add_f16_e32 v2, v3, v2
	v_fma_f16 v3, v12, s15, v26
	v_add_f16_e32 v12, v4, v9
	v_sub_f16_e32 v4, v4, v9
	v_add_f16_e32 v1, v3, v1
	v_add_f16_e32 v3, v13, v21
	v_mul_f16_e32 v9, 0xbbeb, v4
	v_sub_f16_e32 v13, v13, v21
	v_fma_f16 v21, v3, s6, v9
	v_add_f16_e32 v21, v21, v22
	v_mul_f16_e32 v22, 0xb08e, v12
	v_fma_f16 v9, v3, s6, -v9
	v_add_f16_e32 v9, v9, v10
	v_fma_f16 v10, v13, s2, v22
	v_add_f16_e32 v10, v10, v19
	v_mul_f16_e32 v19, 0x3482, v4
	v_fma_f16 v23, v13, s16, v22
	v_fma_f16 v22, v3, s21, v19
	v_fma_f16 v19, v3, s21, -v19
	v_mul_f16_e32 v26, 0xbbad, v12
	v_add_f16_e32 v19, v19, v27
	v_mul_f16_e32 v27, 0x3b47, v4
	v_add_f16_e32 v23, v23, v31
	v_add_f16_e32 v22, v22, v32
	v_fma_f16 v31, v13, s20, v26
	v_fma_f16 v26, v13, s22, v26
	;; [unrolled: 1-line block ×3, first 2 shown]
	v_fma_f16 v27, v3, s4, -v27
	v_add_f16_e32 v26, v26, v33
	v_mul_f16_e32 v33, 0x36a6, v12
	v_add_f16_e32 v27, v27, v34
	v_mul_f16_e32 v34, 0xb853, v4
	v_add_f16_e32 v31, v31, v35
	v_add_f16_e32 v32, v32, v36
	v_fma_f16 v35, v13, s3, v33
	v_fma_f16 v33, v13, s5, v33
	;; [unrolled: 1-line block ×3, first 2 shown]
	v_fma_f16 v34, v3, s14, -v34
	v_mul_f16_e32 v4, 0xba0c, v4
	v_add_f16_e32 v33, v33, v37
	v_mul_f16_e32 v37, 0x3abb, v12
	v_add_f16_e32 v34, v34, v38
	v_fma_f16 v38, v3, s18, v4
	v_mul_f16_e32 v12, 0xb93d, v12
	v_fma_f16 v3, v3, s18, -v4
	v_add_f16_e32 v2, v3, v2
	v_fma_f16 v3, v13, s17, v12
	v_add_f16_e32 v4, v5, v8
	v_sub_f16_e32 v5, v5, v8
	v_add_f16_e32 v1, v3, v1
	v_add_f16_e32 v3, v14, v20
	v_mul_f16_e32 v8, 0xba0c, v5
	v_add_f16_e32 v35, v35, v39
	v_add_f16_e32 v36, v36, v40
	v_fma_f16 v39, v13, s15, v37
	v_fma_f16 v37, v13, s7, v37
	;; [unrolled: 1-line block ×3, first 2 shown]
	v_sub_f16_e32 v12, v14, v20
	v_fma_f16 v13, v3, s18, v8
	v_mul_f16_e32 v14, 0xb93d, v4
	v_fma_f16 v8, v3, s18, -v8
	v_add_f16_e32 v8, v8, v9
	v_fma_f16 v9, v12, s17, v14
	v_add_f16_e32 v9, v9, v10
	v_mul_f16_e32 v10, 0x3beb, v5
	v_add_f16_e32 v13, v13, v21
	v_fma_f16 v20, v12, s19, v14
	v_fma_f16 v14, v3, s6, v10
	v_mul_f16_e32 v21, 0xb08e, v4
	v_fma_f16 v10, v3, s6, -v10
	v_add_f16_e32 v14, v14, v22
	v_fma_f16 v22, v12, s2, v21
	v_add_f16_e32 v10, v10, v19
	v_fma_f16 v19, v12, s16, v21
	v_mul_f16_e32 v21, 0xb853, v5
	v_add_f16_e32 v20, v20, v23
	v_fma_f16 v23, v3, s14, v21
	v_fma_f16 v21, v3, s14, -v21
	v_add_f16_e32 v19, v19, v26
	v_mul_f16_e32 v26, 0x3abb, v4
	v_add_f16_e32 v21, v21, v27
	v_mul_f16_e32 v27, 0xb482, v5
	v_add_f16_e32 v22, v22, v31
	v_add_f16_e32 v23, v23, v32
	v_fma_f16 v31, v12, s15, v26
	v_fma_f16 v26, v12, s7, v26
	;; [unrolled: 1-line block ×3, first 2 shown]
	v_fma_f16 v27, v3, s21, -v27
	v_mul_f16_e32 v5, 0x3b47, v5
	v_add_f16_e32 v26, v26, v33
	v_mul_f16_e32 v33, 0xbbad, v4
	v_add_f16_e32 v27, v27, v34
	v_fma_f16 v34, v3, s4, v5
	v_mul_f16_e32 v4, 0x36a6, v4
	v_fma_f16 v3, v3, s4, -v5
	v_add_f16_e32 v32, v32, v36
	v_fma_f16 v36, v12, s3, v4
	v_add_f16_e32 v2, v3, v2
	v_fma_f16 v3, v12, s5, v4
	v_add_f16_e32 v4, v6, v7
	v_sub_f16_e32 v6, v6, v7
	v_add_f16_e32 v1, v3, v1
	v_add_f16_e32 v3, v15, v18
	v_mul_f16_e32 v7, 0xb482, v6
	v_add_f16_e32 v31, v31, v35
	v_fma_f16 v35, v12, s22, v33
	v_fma_f16 v33, v12, s20, v33
	;; [unrolled: 1-line block ×3, first 2 shown]
	v_sub_f16_e32 v5, v15, v18
	v_add_f16_e32 v12, v12, v13
	v_mul_f16_e32 v13, 0xbbad, v4
	v_fma_f16 v7, v3, s21, -v7
	v_add_f16_e32 v7, v7, v8
	v_fma_f16 v8, v5, s20, v13
	v_add_f16_e32 v8, v8, v9
	v_mul_f16_e32 v9, 0x3853, v6
	v_fma_f16 v15, v5, s22, v13
	v_fma_f16 v13, v3, s14, v9
	v_add_f16_e32 v13, v13, v14
	v_mul_f16_e32 v14, 0x3abb, v4
	v_fma_f16 v9, v3, s14, -v9
	v_fma_f16 v18, v5, s7, v14
	v_add_f16_e32 v9, v9, v10
	v_fma_f16 v10, v5, s15, v14
	v_mul_f16_e32 v14, 0xba0c, v6
	v_add_f16_e32 v10, v10, v19
	v_fma_f16 v19, v3, s18, v14
	v_fma_f16 v14, v3, s18, -v14
	v_add_f16_e32 v15, v15, v20
	v_mul_f16_e32 v20, 0xb93d, v4
	v_add_f16_e32 v14, v14, v21
	v_mul_f16_e32 v21, 0x3b47, v6
	v_add_f16_e32 v18, v18, v22
	v_add_f16_e32 v19, v19, v23
	v_fma_f16 v22, v5, s19, v20
	v_fma_f16 v20, v5, s17, v20
	;; [unrolled: 1-line block ×3, first 2 shown]
	v_fma_f16 v21, v3, s4, -v21
	v_mul_f16_e32 v6, 0xbbeb, v6
	v_add_f16_e32 v43, v43, v45
	v_add_f16_e32 v42, v42, v46
	;; [unrolled: 1-line block ×4, first 2 shown]
	v_mul_f16_e32 v26, 0x36a6, v4
	v_add_f16_e32 v21, v21, v27
	v_fma_f16 v27, v3, s6, v6
	v_mul_f16_e32 v4, 0xb08e, v4
	v_fma_f16 v3, v3, s6, -v6
	v_add_f16_e32 v39, v39, v43
	v_add_f16_e32 v37, v37, v41
	v_add_f16_e32 v38, v38, v42
	v_add_f16_e32 v40, v40, v44
	v_add_f16_e32 v2, v3, v2
	v_fma_f16 v3, v5, s2, v4
	v_add_f16_e32 v35, v35, v39
	v_add_f16_e32 v33, v33, v37
	;; [unrolled: 1-line block ×6, first 2 shown]
	v_fma_f16 v31, v5, s3, v26
	v_fma_f16 v26, v5, s5, v26
	;; [unrolled: 1-line block ×3, first 2 shown]
	v_add_f16_e32 v1, v3, v1
	v_pack_b32_f16 v3, v24, v25
	v_pack_b32_f16 v4, v12, v15
	v_add_f16_e32 v31, v31, v35
	v_add_f16_e32 v26, v26, v33
	v_add_f16_e32 v27, v27, v34
	v_add_f16_e32 v32, v32, v36
	ds_write2_b32 v53, v3, v4 offset1:182
	v_pack_b32_f16 v3, v13, v18
	v_pack_b32_f16 v4, v19, v22
	ds_write2_b32 v0, v3, v4 offset0:44 offset1:226
	v_pack_b32_f16 v3, v23, v31
	v_pack_b32_f16 v4, v27, v32
	;; [unrolled: 1-line block ×4, first 2 shown]
	ds_write2_b32 v11, v3, v4 offset0:24 offset1:206
	ds_write2_b32 v16, v1, v2 offset0:68 offset1:250
	v_pack_b32_f16 v1, v14, v20
	v_pack_b32_f16 v2, v9, v10
	ds_write2_b32 v17, v1, v2 offset0:48 offset1:230
	v_pack_b32_f16 v1, v7, v8
	ds_write_b32 v53, v1 offset:7280
	s_waitcnt lgkmcnt(0)
	s_barrier
	ds_read2_b32 v[2:3], v53 offset1:182
	s_mov_b32 s6, 0x27a3ee9c
	s_mov_b32 s7, 0x3f405e1d
	v_mad_u64_u32 v[4:5], s[2:3], s10, v30, 0
	s_waitcnt lgkmcnt(0)
	v_lshrrev_b32_e32 v10, 16, v2
	v_mul_f16_sdwa v1, v64, v10 dst_sel:DWORD dst_unused:UNUSED_PAD src0_sel:WORD_1 src1_sel:DWORD
	v_fma_f16 v1, v64, v2, v1
	v_cvt_f32_f16_e32 v1, v1
	s_movk_i32 s14, 0x1ff
	s_movk_i32 s15, 0xffe
	;; [unrolled: 1-line block ×3, first 2 shown]
	v_cvt_f64_f32_e32 v[6:7], v1
	v_mov_b32_e32 v1, v5
	v_mad_u64_u32 v[8:9], s[2:3], s11, v30, v[1:2]
	v_mul_f64 v[6:7], v[6:7], s[6:7]
	v_mul_f16_sdwa v2, v64, v2 dst_sel:DWORD dst_unused:UNUSED_PAD src0_sel:WORD_1 src1_sel:DWORD
	v_mov_b32_e32 v5, v8
	v_fma_f16 v2, v64, v10, -v2
	s_mov_b32 s17, 0x8000
	v_lshlrev_b64 v[4:5], 2, v[4:5]
	s_movk_i32 s18, 0x1000
	v_and_or_b32 v1, v7, s14, v6
	v_cmp_ne_u32_e32 vcc, 0, v1
	v_cndmask_b32_e64 v1, 0, 1, vcc
	v_lshrrev_b32_e32 v6, 8, v7
	v_bfe_u32 v8, v7, 20, 11
	v_and_or_b32 v1, v6, s15, v1
	v_sub_u32_e32 v9, 0x3f1, v8
	v_or_b32_e32 v6, 0x1000, v1
	v_med3_i32 v9, v9, 0, 13
	v_lshrrev_b32_e32 v11, v9, v6
	v_lshlrev_b32_e32 v9, v9, v11
	v_cmp_ne_u32_e32 vcc, v9, v6
	v_cndmask_b32_e64 v6, 0, 1, vcc
	v_or_b32_e32 v6, v11, v6
	v_add_u32_e32 v11, 0xfffffc10, v8
	v_lshl_or_b32 v8, v11, 12, v1
	v_cmp_gt_i32_e32 vcc, 1, v11
	v_cndmask_b32_e32 v6, v8, v6, vcc
	v_and_b32_e32 v8, 7, v6
	v_cmp_lt_i32_e32 vcc, 5, v8
	v_cmp_eq_u32_e64 s[2:3], 3, v8
	v_cvt_f32_f16_e32 v8, v2
	v_lshrrev_b32_e32 v6, 2, v6
	s_or_b64 vcc, s[2:3], vcc
	v_addc_co_u32_e32 v6, vcc, 0, v6, vcc
	v_cvt_f64_f32_e32 v[8:9], v8
	v_mov_b32_e32 v2, 0x7c00
	v_cmp_gt_i32_e32 vcc, 31, v11
	v_cndmask_b32_e32 v6, v2, v6, vcc
	v_mul_f64 v[8:9], v[8:9], s[6:7]
	v_cmp_ne_u32_e32 vcc, 0, v1
	v_cndmask_b32_e64 v1, 0, 1, vcc
	v_lshl_or_b32 v1, v1, 9, v2
	v_cmp_eq_u32_e32 vcc, s16, v11
	v_cndmask_b32_e32 v1, v6, v1, vcc
	v_lshrrev_b32_e32 v6, 16, v7
	v_and_or_b32 v12, v6, s17, v1
	v_and_or_b32 v1, v9, s14, v8
	v_cmp_ne_u32_e32 vcc, 0, v1
	v_cndmask_b32_e64 v1, 0, 1, vcc
	v_lshrrev_b32_e32 v6, 8, v9
	v_bfe_u32 v7, v9, 20, 11
	v_and_or_b32 v1, v6, s15, v1
	v_sub_u32_e32 v8, 0x3f1, v7
	v_or_b32_e32 v6, 0x1000, v1
	v_med3_i32 v8, v8, 0, 13
	v_lshrrev_b32_e32 v10, v8, v6
	v_lshlrev_b32_e32 v8, v8, v10
	v_cmp_ne_u32_e32 vcc, v8, v6
	v_cndmask_b32_e64 v6, 0, 1, vcc
	v_add_u32_e32 v7, 0xfffffc10, v7
	v_or_b32_e32 v6, v10, v6
	v_lshl_or_b32 v8, v7, 12, v1
	v_cmp_gt_i32_e32 vcc, 1, v7
	v_cndmask_b32_e32 v6, v8, v6, vcc
	v_and_b32_e32 v8, 7, v6
	v_cmp_lt_i32_e32 vcc, 5, v8
	v_cmp_eq_u32_e64 s[2:3], 3, v8
	v_lshrrev_b32_e32 v6, 2, v6
	s_or_b64 vcc, s[2:3], vcc
	v_addc_co_u32_e32 v6, vcc, 0, v6, vcc
	v_cmp_gt_i32_e32 vcc, 31, v7
	v_cndmask_b32_e32 v6, v2, v6, vcc
	v_cmp_ne_u32_e32 vcc, 0, v1
	v_cndmask_b32_e64 v1, 0, 1, vcc
	v_lshl_or_b32 v1, v1, 9, v2
	v_cmp_eq_u32_e32 vcc, s16, v7
	v_cndmask_b32_e32 v13, v6, v1, vcc
	v_add_u32_e32 v1, 0xf00, v53
	v_mad_u64_u32 v[6:7], s[2:3], s8, v62, 0
	ds_read2_b32 v[10:11], v1 offset0:41 offset1:223
	v_lshrrev_b32_e32 v9, 16, v9
	v_mov_b32_e32 v1, v7
	v_mad_u64_u32 v[7:8], s[2:3], s9, v62, v[1:2]
	s_waitcnt lgkmcnt(0)
	v_lshrrev_b32_e32 v1, 16, v10
	v_mul_f16_sdwa v8, v63, v1 dst_sel:DWORD dst_unused:UNUSED_PAD src0_sel:WORD_1 src1_sel:DWORD
	v_fma_f16 v8, v63, v10, v8
	v_cvt_f32_f16_e32 v8, v8
	v_and_or_b32 v13, v9, s17, v13
	v_and_b32_e32 v12, 0xffff, v12
	v_lshl_or_b32 v12, v13, 16, v12
	v_cvt_f64_f32_e32 v[8:9], v8
	v_mov_b32_e32 v13, s13
	v_add_co_u32_e32 v14, vcc, s12, v4
	v_mul_f64 v[8:9], v[8:9], s[6:7]
	v_addc_co_u32_e32 v13, vcc, v13, v5, vcc
	v_lshlrev_b64 v[4:5], 2, v[6:7]
	v_mul_f16_sdwa v10, v63, v10 dst_sel:DWORD dst_unused:UNUSED_PAD src0_sel:WORD_1 src1_sel:DWORD
	v_add_co_u32_e32 v4, vcc, v14, v4
	v_addc_co_u32_e32 v5, vcc, v13, v5, vcc
	v_and_or_b32 v6, v9, s14, v8
	v_cmp_ne_u32_e32 vcc, 0, v6
	v_cndmask_b32_e64 v6, 0, 1, vcc
	v_lshrrev_b32_e32 v7, 8, v9
	v_and_or_b32 v8, v7, s15, v6
	v_bfe_u32 v7, v9, 20, 11
	global_store_dword v[4:5], v12, off
	v_sub_u32_e32 v12, 0x3f1, v7
	v_or_b32_e32 v6, 0x1000, v8
	v_med3_i32 v12, v12, 0, 13
	v_lshrrev_b32_e32 v13, v12, v6
	v_lshlrev_b32_e32 v12, v12, v13
	v_cmp_ne_u32_e32 vcc, v12, v6
	v_fma_f16 v1, v63, v1, -v10
	v_cndmask_b32_e64 v6, 0, 1, vcc
	v_add_u32_e32 v12, 0xfffffc10, v7
	v_cvt_f32_f16_e32 v1, v1
	v_or_b32_e32 v6, v13, v6
	v_lshl_or_b32 v7, v12, 12, v8
	v_cmp_gt_i32_e32 vcc, 1, v12
	v_cndmask_b32_e32 v6, v7, v6, vcc
	v_and_b32_e32 v7, 7, v6
	v_cmp_lt_i32_e32 vcc, 5, v7
	v_cmp_eq_u32_e64 s[2:3], 3, v7
	v_lshrrev_b32_e32 v10, 2, v6
	v_cvt_f64_f32_e32 v[6:7], v1
	s_or_b64 vcc, s[2:3], vcc
	v_addc_co_u32_e32 v1, vcc, 0, v10, vcc
	v_mul_f64 v[6:7], v[6:7], s[6:7]
	v_cmp_gt_i32_e32 vcc, 31, v12
	v_cndmask_b32_e32 v1, v2, v1, vcc
	v_cmp_ne_u32_e32 vcc, 0, v8
	v_cndmask_b32_e64 v8, 0, 1, vcc
	v_lshl_or_b32 v8, v8, 9, v2
	v_cmp_eq_u32_e32 vcc, s16, v12
	v_cndmask_b32_e32 v1, v1, v8, vcc
	v_and_or_b32 v6, v7, s14, v6
	v_lshrrev_b32_e32 v8, 16, v9
	v_cmp_ne_u32_e32 vcc, 0, v6
	v_and_or_b32 v1, v8, s17, v1
	v_cndmask_b32_e64 v6, 0, 1, vcc
	v_lshrrev_b32_e32 v8, 8, v7
	v_bfe_u32 v9, v7, 20, 11
	v_and_or_b32 v6, v8, s15, v6
	v_sub_u32_e32 v10, 0x3f1, v9
	v_or_b32_e32 v8, 0x1000, v6
	v_med3_i32 v10, v10, 0, 13
	v_lshrrev_b32_e32 v12, v10, v8
	v_lshlrev_b32_e32 v10, v10, v12
	v_cmp_ne_u32_e32 vcc, v10, v8
	v_cndmask_b32_e64 v8, 0, 1, vcc
	v_add_u32_e32 v9, 0xfffffc10, v9
	v_or_b32_e32 v8, v12, v8
	v_lshl_or_b32 v10, v9, 12, v6
	v_cmp_gt_i32_e32 vcc, 1, v9
	v_cndmask_b32_e32 v8, v10, v8, vcc
	v_and_b32_e32 v10, 7, v8
	v_cmp_lt_i32_e32 vcc, 5, v10
	v_cmp_eq_u32_e64 s[2:3], 3, v10
	v_lshrrev_b32_e32 v8, 2, v8
	s_or_b64 vcc, s[2:3], vcc
	v_addc_co_u32_e32 v8, vcc, 0, v8, vcc
	v_cmp_gt_i32_e32 vcc, 31, v9
	v_cndmask_b32_e32 v8, v2, v8, vcc
	v_cmp_ne_u32_e32 vcc, 0, v6
	v_cndmask_b32_e64 v6, 0, 1, vcc
	v_lshl_or_b32 v6, v6, 9, v2
	v_cmp_eq_u32_e32 vcc, s16, v9
	v_cndmask_b32_e32 v6, v8, v6, vcc
	v_lshrrev_b32_e32 v7, 16, v7
	v_lshrrev_b32_e32 v9, 16, v3
	v_and_or_b32 v8, v7, s17, v6
	v_mul_f16_sdwa v6, v61, v9 dst_sel:DWORD dst_unused:UNUSED_PAD src0_sel:WORD_1 src1_sel:DWORD
	v_fma_f16 v6, v61, v3, v6
	v_cvt_f32_f16_e32 v6, v6
	s_mul_i32 s2, s9, 0x3e9
	s_mul_hi_u32 s3, s8, 0x3e9
	s_add_i32 s3, s3, s2
	v_cvt_f64_f32_e32 v[6:7], v6
	s_mul_i32 s2, s8, 0x3e9
	v_and_b32_e32 v1, 0xffff, v1
	s_lshl_b64 s[10:11], s[2:3], 2
	v_mul_f64 v[6:7], v[6:7], s[6:7]
	v_lshl_or_b32 v8, v8, 16, v1
	v_mov_b32_e32 v1, s11
	v_add_co_u32_e32 v4, vcc, s10, v4
	v_addc_co_u32_e32 v5, vcc, v5, v1, vcc
	global_store_dword v[4:5], v8, off
	v_and_or_b32 v6, v7, s14, v6
	v_cmp_ne_u32_e32 vcc, 0, v6
	v_cndmask_b32_e64 v6, 0, 1, vcc
	v_lshrrev_b32_e32 v8, 8, v7
	v_bfe_u32 v10, v7, 20, 11
	v_and_or_b32 v6, v8, s15, v6
	v_sub_u32_e32 v12, 0x3f1, v10
	v_or_b32_e32 v8, 0x1000, v6
	v_med3_i32 v12, v12, 0, 13
	v_lshrrev_b32_e32 v13, v12, v8
	v_lshlrev_b32_e32 v12, v12, v13
	v_mul_f16_sdwa v3, v61, v3 dst_sel:DWORD dst_unused:UNUSED_PAD src0_sel:WORD_1 src1_sel:DWORD
	v_cmp_ne_u32_e32 vcc, v12, v8
	v_fma_f16 v3, v61, v9, -v3
	v_cndmask_b32_e64 v8, 0, 1, vcc
	v_add_u32_e32 v10, 0xfffffc10, v10
	v_cvt_f32_f16_e32 v3, v3
	v_or_b32_e32 v8, v13, v8
	v_lshl_or_b32 v12, v10, 12, v6
	v_cmp_gt_i32_e32 vcc, 1, v10
	v_cndmask_b32_e32 v8, v12, v8, vcc
	v_and_b32_e32 v12, 7, v8
	v_cmp_lt_i32_e32 vcc, 5, v12
	v_cmp_eq_u32_e64 s[2:3], 3, v12
	v_lshrrev_b32_e32 v12, 2, v8
	v_cvt_f64_f32_e32 v[8:9], v3
	s_or_b64 vcc, s[2:3], vcc
	v_addc_co_u32_e32 v3, vcc, 0, v12, vcc
	v_mul_f64 v[8:9], v[8:9], s[6:7]
	v_cmp_gt_i32_e32 vcc, 31, v10
	v_cndmask_b32_e32 v3, v2, v3, vcc
	v_cmp_ne_u32_e32 vcc, 0, v6
	v_cndmask_b32_e64 v6, 0, 1, vcc
	v_lshl_or_b32 v6, v6, 9, v2
	v_cmp_eq_u32_e32 vcc, s16, v10
	v_cndmask_b32_e32 v3, v3, v6, vcc
	v_lshrrev_b32_e32 v6, 16, v7
	v_and_or_b32 v3, v6, s17, v3
	v_and_or_b32 v6, v9, s14, v8
	v_cmp_ne_u32_e32 vcc, 0, v6
	v_cndmask_b32_e64 v6, 0, 1, vcc
	v_lshrrev_b32_e32 v7, 8, v9
	v_bfe_u32 v8, v9, 20, 11
	v_and_or_b32 v6, v7, s15, v6
	v_sub_u32_e32 v10, 0x3f1, v8
	v_or_b32_e32 v7, 0x1000, v6
	v_med3_i32 v10, v10, 0, 13
	v_lshrrev_b32_e32 v12, v10, v7
	v_lshlrev_b32_e32 v10, v10, v12
	v_cmp_ne_u32_e32 vcc, v10, v7
	v_cndmask_b32_e64 v7, 0, 1, vcc
	v_add_u32_e32 v8, 0xfffffc10, v8
	v_or_b32_e32 v7, v12, v7
	v_lshl_or_b32 v10, v8, 12, v6
	v_cmp_gt_i32_e32 vcc, 1, v8
	v_cndmask_b32_e32 v7, v10, v7, vcc
	v_and_b32_e32 v10, 7, v7
	v_cmp_lt_i32_e32 vcc, 5, v10
	v_cmp_eq_u32_e64 s[2:3], 3, v10
	v_lshrrev_b32_e32 v7, 2, v7
	s_or_b64 vcc, s[2:3], vcc
	v_addc_co_u32_e32 v7, vcc, 0, v7, vcc
	v_cmp_gt_i32_e32 vcc, 31, v8
	v_cndmask_b32_e32 v7, v2, v7, vcc
	v_cmp_ne_u32_e32 vcc, 0, v6
	v_cndmask_b32_e64 v6, 0, 1, vcc
	v_lshl_or_b32 v6, v6, 9, v2
	v_cmp_eq_u32_e32 vcc, s16, v8
	v_cndmask_b32_e32 v6, v7, v6, vcc
	v_lshrrev_b32_e32 v7, 16, v9
	v_lshrrev_b32_e32 v9, 16, v11
	v_and_or_b32 v8, v7, s17, v6
	v_mul_f16_sdwa v6, v60, v9 dst_sel:DWORD dst_unused:UNUSED_PAD src0_sel:WORD_1 src1_sel:DWORD
	v_fma_f16 v6, v60, v11, v6
	v_cvt_f32_f16_e32 v6, v6
	s_mul_hi_u32 s3, s8, 0xfffffccd
	s_mul_i32 s2, s9, 0xfffffccd
	s_sub_i32 s3, s3, s8
	v_cvt_f64_f32_e32 v[6:7], v6
	s_add_i32 s3, s3, s2
	s_mul_i32 s2, s8, 0xfffffccd
	v_and_b32_e32 v3, 0xffff, v3
	v_mul_f64 v[6:7], v[6:7], s[6:7]
	s_lshl_b64 s[4:5], s[2:3], 2
	v_lshl_or_b32 v8, v8, 16, v3
	v_mov_b32_e32 v3, s5
	v_add_co_u32_e32 v4, vcc, s4, v4
	v_addc_co_u32_e32 v5, vcc, v5, v3, vcc
	v_and_or_b32 v6, v7, s14, v6
	v_cmp_ne_u32_e32 vcc, 0, v6
	global_store_dword v[4:5], v8, off
	v_cndmask_b32_e64 v6, 0, 1, vcc
	v_lshrrev_b32_e32 v8, 8, v7
	v_bfe_u32 v10, v7, 20, 11
	v_and_or_b32 v6, v8, s15, v6
	v_sub_u32_e32 v12, 0x3f1, v10
	v_or_b32_e32 v8, 0x1000, v6
	v_med3_i32 v12, v12, 0, 13
	v_lshrrev_b32_e32 v13, v12, v8
	v_mul_f16_sdwa v11, v60, v11 dst_sel:DWORD dst_unused:UNUSED_PAD src0_sel:WORD_1 src1_sel:DWORD
	v_lshlrev_b32_e32 v12, v12, v13
	v_fma_f16 v9, v60, v9, -v11
	v_cmp_ne_u32_e32 vcc, v12, v8
	v_cvt_f32_f16_e32 v9, v9
	v_cndmask_b32_e64 v8, 0, 1, vcc
	v_add_u32_e32 v10, 0xfffffc10, v10
	v_or_b32_e32 v8, v13, v8
	v_lshl_or_b32 v12, v10, 12, v6
	v_cmp_gt_i32_e32 vcc, 1, v10
	v_cndmask_b32_e32 v8, v12, v8, vcc
	v_and_b32_e32 v12, 7, v8
	v_lshrrev_b32_e32 v11, 2, v8
	v_cvt_f64_f32_e32 v[8:9], v9
	v_cmp_lt_i32_e32 vcc, 5, v12
	v_cmp_eq_u32_e64 s[2:3], 3, v12
	s_or_b64 vcc, s[2:3], vcc
	v_mul_f64 v[8:9], v[8:9], s[6:7]
	v_addc_co_u32_e32 v11, vcc, 0, v11, vcc
	v_cmp_gt_i32_e32 vcc, 31, v10
	v_cndmask_b32_e32 v11, v2, v11, vcc
	v_cmp_ne_u32_e32 vcc, 0, v6
	v_cndmask_b32_e64 v6, 0, 1, vcc
	v_lshl_or_b32 v6, v6, 9, v2
	v_cmp_eq_u32_e32 vcc, s16, v10
	v_cndmask_b32_e32 v6, v11, v6, vcc
	v_lshrrev_b32_e32 v7, 16, v7
	v_and_or_b32 v12, v7, s17, v6
	v_and_or_b32 v6, v9, s14, v8
	v_cmp_ne_u32_e32 vcc, 0, v6
	v_cndmask_b32_e64 v6, 0, 1, vcc
	v_lshrrev_b32_e32 v7, 8, v9
	v_and_or_b32 v8, v7, s15, v6
	v_bfe_u32 v7, v9, 20, 11
	v_sub_u32_e32 v10, 0x3f1, v7
	v_or_b32_e32 v6, 0x1000, v8
	v_med3_i32 v10, v10, 0, 13
	v_lshrrev_b32_e32 v11, v10, v6
	v_lshlrev_b32_e32 v10, v10, v11
	v_cmp_ne_u32_e32 vcc, v10, v6
	v_cndmask_b32_e64 v6, 0, 1, vcc
	v_add_u32_e32 v13, 0xfffffc10, v7
	v_or_b32_e32 v6, v11, v6
	v_lshl_or_b32 v7, v13, 12, v8
	v_cmp_gt_i32_e32 vcc, 1, v13
	v_cndmask_b32_e32 v6, v7, v6, vcc
	v_and_b32_e32 v7, 7, v6
	v_cmp_lt_i32_e32 vcc, 5, v7
	v_cmp_eq_u32_e64 s[2:3], 3, v7
	v_lshrrev_b32_e32 v10, 2, v6
	ds_read2_b32 v[6:7], v0 offset0:44 offset1:226
	s_or_b64 vcc, s[2:3], vcc
	v_addc_co_u32_e32 v0, vcc, 0, v10, vcc
	v_cmp_gt_i32_e32 vcc, 31, v13
	s_waitcnt lgkmcnt(0)
	v_lshrrev_b32_e32 v14, 16, v6
	v_mul_f16_sdwa v10, v59, v14 dst_sel:DWORD dst_unused:UNUSED_PAD src0_sel:WORD_1 src1_sel:DWORD
	v_fma_f16 v10, v59, v6, v10
	v_cvt_f32_f16_e32 v10, v10
	v_cndmask_b32_e32 v0, v2, v0, vcc
	v_cmp_ne_u32_e32 vcc, 0, v8
	v_cndmask_b32_e64 v8, 0, 1, vcc
	v_cvt_f64_f32_e32 v[10:11], v10
	v_lshl_or_b32 v8, v8, 9, v2
	v_cmp_eq_u32_e32 vcc, s16, v13
	v_cndmask_b32_e32 v0, v0, v8, vcc
	v_lshrrev_b32_e32 v8, 16, v9
	v_and_or_b32 v0, v8, s17, v0
	v_mul_f64 v[8:9], v[10:11], s[6:7]
	v_and_b32_e32 v10, 0xffff, v12
	v_add_co_u32_e32 v4, vcc, s10, v4
	v_lshl_or_b32 v0, v0, 16, v10
	v_addc_co_u32_e32 v5, vcc, v5, v1, vcc
	global_store_dword v[4:5], v0, off
	v_and_or_b32 v0, v9, s14, v8
	v_cmp_ne_u32_e32 vcc, 0, v0
	v_cndmask_b32_e64 v0, 0, 1, vcc
	v_lshrrev_b32_e32 v8, 8, v9
	v_bfe_u32 v10, v9, 20, 11
	v_and_or_b32 v0, v8, s15, v0
	v_sub_u32_e32 v11, 0x3f1, v10
	v_or_b32_e32 v8, 0x1000, v0
	v_med3_i32 v11, v11, 0, 13
	v_lshrrev_b32_e32 v12, v11, v8
	v_lshlrev_b32_e32 v11, v11, v12
	v_cmp_ne_u32_e32 vcc, v11, v8
	v_mul_f16_sdwa v6, v59, v6 dst_sel:DWORD dst_unused:UNUSED_PAD src0_sel:WORD_1 src1_sel:DWORD
	v_cndmask_b32_e64 v8, 0, 1, vcc
	v_fma_f16 v6, v59, v14, -v6
	v_or_b32_e32 v8, v12, v8
	v_add_u32_e32 v12, 0xfffffc10, v10
	v_cvt_f32_f16_e32 v6, v6
	v_lshl_or_b32 v10, v12, 12, v0
	v_cmp_gt_i32_e32 vcc, 1, v12
	v_cndmask_b32_e32 v8, v10, v8, vcc
	v_and_b32_e32 v10, 7, v8
	v_cmp_lt_i32_e32 vcc, 5, v10
	v_cmp_eq_u32_e64 s[2:3], 3, v10
	v_cvt_f64_f32_e32 v[10:11], v6
	v_lshrrev_b32_e32 v8, 2, v8
	s_or_b64 vcc, s[2:3], vcc
	v_addc_co_u32_e32 v6, vcc, 0, v8, vcc
	v_mul_f64 v[10:11], v[10:11], s[6:7]
	v_cmp_gt_i32_e32 vcc, 31, v12
	v_cndmask_b32_e32 v6, v2, v6, vcc
	v_cmp_ne_u32_e32 vcc, 0, v0
	v_cndmask_b32_e64 v0, 0, 1, vcc
	v_lshl_or_b32 v0, v0, 9, v2
	v_cmp_eq_u32_e32 vcc, s16, v12
	v_cndmask_b32_e32 v0, v6, v0, vcc
	v_lshrrev_b32_e32 v6, 16, v9
	v_and_or_b32 v0, v6, s17, v0
	v_and_or_b32 v6, v11, s14, v10
	v_cmp_ne_u32_e32 vcc, 0, v6
	v_cndmask_b32_e64 v6, 0, 1, vcc
	v_lshrrev_b32_e32 v8, 8, v11
	v_bfe_u32 v9, v11, 20, 11
	v_and_or_b32 v6, v8, s15, v6
	v_sub_u32_e32 v10, 0x3f1, v9
	v_or_b32_e32 v8, 0x1000, v6
	v_med3_i32 v10, v10, 0, 13
	v_lshrrev_b32_e32 v12, v10, v8
	v_lshlrev_b32_e32 v10, v10, v12
	v_cmp_ne_u32_e32 vcc, v10, v8
	v_cndmask_b32_e64 v8, 0, 1, vcc
	v_add_u32_e32 v10, 0xfffffc10, v9
	v_or_b32_e32 v8, v12, v8
	v_lshl_or_b32 v9, v10, 12, v6
	v_cmp_gt_i32_e32 vcc, 1, v10
	v_cndmask_b32_e32 v8, v9, v8, vcc
	v_and_b32_e32 v9, 7, v8
	v_lshrrev_b32_e32 v12, 2, v8
	v_add_u32_e32 v8, 0x1500, v53
	v_cmp_lt_i32_e32 vcc, 5, v9
	v_cmp_eq_u32_e64 s[2:3], 3, v9
	ds_read2_b32 v[8:9], v8 offset0:21 offset1:203
	s_or_b64 vcc, s[2:3], vcc
	v_addc_co_u32_e32 v12, vcc, 0, v12, vcc
	v_cmp_gt_i32_e32 vcc, 31, v10
	s_waitcnt lgkmcnt(0)
	v_lshrrev_b32_e32 v15, 16, v8
	v_cndmask_b32_e32 v14, v2, v12, vcc
	v_mul_f16_sdwa v12, v58, v15 dst_sel:DWORD dst_unused:UNUSED_PAD src0_sel:WORD_1 src1_sel:DWORD
	v_fma_f16 v12, v58, v8, v12
	v_cvt_f32_f16_e32 v12, v12
	v_cmp_ne_u32_e32 vcc, 0, v6
	v_cndmask_b32_e64 v6, 0, 1, vcc
	v_lshl_or_b32 v6, v6, 9, v2
	v_cvt_f64_f32_e32 v[12:13], v12
	v_cmp_eq_u32_e32 vcc, s16, v10
	v_cndmask_b32_e32 v6, v14, v6, vcc
	v_lshrrev_b32_e32 v10, 16, v11
	v_and_or_b32 v6, v10, s17, v6
	v_mul_f64 v[10:11], v[12:13], s[6:7]
	v_and_b32_e32 v0, 0xffff, v0
	v_add_co_u32_e32 v4, vcc, s4, v4
	v_lshl_or_b32 v0, v6, 16, v0
	v_addc_co_u32_e32 v5, vcc, v5, v3, vcc
	global_store_dword v[4:5], v0, off
	v_and_or_b32 v0, v11, s14, v10
	v_cmp_ne_u32_e32 vcc, 0, v0
	v_cndmask_b32_e64 v0, 0, 1, vcc
	v_lshrrev_b32_e32 v6, 8, v11
	v_bfe_u32 v10, v11, 20, 11
	v_and_or_b32 v0, v6, s15, v0
	v_sub_u32_e32 v12, 0x3f1, v10
	v_or_b32_e32 v6, 0x1000, v0
	v_med3_i32 v12, v12, 0, 13
	v_lshrrev_b32_e32 v13, v12, v6
	v_lshlrev_b32_e32 v12, v12, v13
	v_mul_f16_sdwa v8, v58, v8 dst_sel:DWORD dst_unused:UNUSED_PAD src0_sel:WORD_1 src1_sel:DWORD
	v_cmp_ne_u32_e32 vcc, v12, v6
	v_fma_f16 v8, v58, v15, -v8
	v_cndmask_b32_e64 v6, 0, 1, vcc
	v_add_u32_e32 v10, 0xfffffc10, v10
	v_cvt_f32_f16_e32 v8, v8
	v_or_b32_e32 v6, v13, v6
	v_lshl_or_b32 v12, v10, 12, v0
	v_cmp_gt_i32_e32 vcc, 1, v10
	v_cndmask_b32_e32 v6, v12, v6, vcc
	v_and_b32_e32 v12, 7, v6
	v_cmp_lt_i32_e32 vcc, 5, v12
	v_cmp_eq_u32_e64 s[2:3], 3, v12
	v_cvt_f64_f32_e32 v[12:13], v8
	v_lshrrev_b32_e32 v6, 2, v6
	s_or_b64 vcc, s[2:3], vcc
	v_addc_co_u32_e32 v6, vcc, 0, v6, vcc
	v_mul_f64 v[12:13], v[12:13], s[6:7]
	v_cmp_gt_i32_e32 vcc, 31, v10
	v_cndmask_b32_e32 v6, v2, v6, vcc
	v_cmp_ne_u32_e32 vcc, 0, v0
	v_cndmask_b32_e64 v0, 0, 1, vcc
	v_lshl_or_b32 v0, v0, 9, v2
	v_cmp_eq_u32_e32 vcc, s16, v10
	v_cndmask_b32_e32 v0, v6, v0, vcc
	v_lshrrev_b32_e32 v6, 16, v11
	v_and_or_b32 v0, v6, s17, v0
	v_and_or_b32 v6, v13, s14, v12
	v_cmp_ne_u32_e32 vcc, 0, v6
	v_cndmask_b32_e64 v6, 0, 1, vcc
	v_lshrrev_b32_e32 v8, 8, v13
	v_bfe_u32 v10, v13, 20, 11
	v_and_or_b32 v6, v8, s15, v6
	v_sub_u32_e32 v11, 0x3f1, v10
	v_or_b32_e32 v8, 0x1000, v6
	v_med3_i32 v11, v11, 0, 13
	v_lshrrev_b32_e32 v12, v11, v8
	v_lshlrev_b32_e32 v11, v11, v12
	v_cmp_ne_u32_e32 vcc, v11, v8
	v_cndmask_b32_e64 v8, 0, 1, vcc
	v_or_b32_e32 v8, v12, v8
	v_add_u32_e32 v12, 0xfffffc10, v10
	v_lshl_or_b32 v10, v12, 12, v6
	v_cmp_gt_i32_e32 vcc, 1, v12
	v_cndmask_b32_e32 v8, v10, v8, vcc
	v_and_b32_e32 v10, 7, v8
	v_lshrrev_b32_e32 v14, 16, v7
	v_cmp_lt_i32_e32 vcc, 5, v10
	v_cmp_eq_u32_e64 s[2:3], 3, v10
	v_mul_f16_sdwa v10, v57, v14 dst_sel:DWORD dst_unused:UNUSED_PAD src0_sel:WORD_1 src1_sel:DWORD
	v_fma_f16 v10, v57, v7, v10
	v_cvt_f32_f16_e32 v10, v10
	v_lshrrev_b32_e32 v8, 2, v8
	s_or_b64 vcc, s[2:3], vcc
	v_addc_co_u32_e32 v8, vcc, 0, v8, vcc
	v_cvt_f64_f32_e32 v[10:11], v10
	v_cmp_gt_i32_e32 vcc, 31, v12
	v_cndmask_b32_e32 v8, v2, v8, vcc
	v_cmp_ne_u32_e32 vcc, 0, v6
	v_mul_f64 v[10:11], v[10:11], s[6:7]
	v_cndmask_b32_e64 v6, 0, 1, vcc
	v_lshl_or_b32 v6, v6, 9, v2
	v_cmp_eq_u32_e32 vcc, s16, v12
	v_cndmask_b32_e32 v6, v8, v6, vcc
	v_lshrrev_b32_e32 v8, 16, v13
	v_and_or_b32 v6, v8, s17, v6
	v_and_b32_e32 v0, 0xffff, v0
	v_add_co_u32_e32 v4, vcc, s10, v4
	v_lshl_or_b32 v0, v6, 16, v0
	v_addc_co_u32_e32 v5, vcc, v5, v1, vcc
	global_store_dword v[4:5], v0, off
	v_and_or_b32 v0, v11, s14, v10
	v_cmp_ne_u32_e32 vcc, 0, v0
	v_cndmask_b32_e64 v0, 0, 1, vcc
	v_lshrrev_b32_e32 v6, 8, v11
	v_bfe_u32 v8, v11, 20, 11
	v_and_or_b32 v0, v6, s15, v0
	v_sub_u32_e32 v10, 0x3f1, v8
	v_or_b32_e32 v6, 0x1000, v0
	v_med3_i32 v10, v10, 0, 13
	v_lshrrev_b32_e32 v12, v10, v6
	v_lshlrev_b32_e32 v10, v10, v12
	v_mul_f16_sdwa v7, v57, v7 dst_sel:DWORD dst_unused:UNUSED_PAD src0_sel:WORD_1 src1_sel:DWORD
	v_cmp_ne_u32_e32 vcc, v10, v6
	v_fma_f16 v7, v57, v14, -v7
	v_cndmask_b32_e64 v6, 0, 1, vcc
	v_add_u32_e32 v8, 0xfffffc10, v8
	v_cvt_f32_f16_e32 v7, v7
	v_or_b32_e32 v6, v12, v6
	v_lshl_or_b32 v10, v8, 12, v0
	v_cmp_gt_i32_e32 vcc, 1, v8
	v_cndmask_b32_e32 v6, v10, v6, vcc
	v_and_b32_e32 v10, 7, v6
	v_cmp_lt_i32_e32 vcc, 5, v10
	v_cmp_eq_u32_e64 s[2:3], 3, v10
	v_lshrrev_b32_e32 v10, 2, v6
	v_cvt_f64_f32_e32 v[6:7], v7
	s_or_b64 vcc, s[2:3], vcc
	v_addc_co_u32_e32 v10, vcc, 0, v10, vcc
	v_mul_f64 v[6:7], v[6:7], s[6:7]
	v_cmp_gt_i32_e32 vcc, 31, v8
	v_cndmask_b32_e32 v10, v2, v10, vcc
	v_cmp_ne_u32_e32 vcc, 0, v0
	v_cndmask_b32_e64 v0, 0, 1, vcc
	v_lshl_or_b32 v0, v0, 9, v2
	v_cmp_eq_u32_e32 vcc, s16, v8
	v_cndmask_b32_e32 v0, v10, v0, vcc
	v_and_or_b32 v6, v7, s14, v6
	v_lshrrev_b32_e32 v8, 16, v11
	v_cmp_ne_u32_e32 vcc, 0, v6
	v_and_or_b32 v0, v8, s17, v0
	v_cndmask_b32_e64 v6, 0, 1, vcc
	v_lshrrev_b32_e32 v8, 8, v7
	v_bfe_u32 v10, v7, 20, 11
	v_and_or_b32 v6, v8, s15, v6
	v_sub_u32_e32 v11, 0x3f1, v10
	v_or_b32_e32 v8, 0x1000, v6
	v_med3_i32 v11, v11, 0, 13
	v_lshrrev_b32_e32 v12, v11, v8
	v_lshlrev_b32_e32 v11, v11, v12
	v_cmp_ne_u32_e32 vcc, v11, v8
	v_cndmask_b32_e64 v8, 0, 1, vcc
	v_or_b32_e32 v8, v12, v8
	v_add_u32_e32 v12, 0xfffffc10, v10
	v_lshl_or_b32 v10, v12, 12, v6
	v_cmp_gt_i32_e32 vcc, 1, v12
	v_cndmask_b32_e32 v8, v10, v8, vcc
	v_and_b32_e32 v10, 7, v8
	v_lshrrev_b32_e32 v13, 16, v9
	v_cmp_lt_i32_e32 vcc, 5, v10
	v_cmp_eq_u32_e64 s[2:3], 3, v10
	v_mul_f16_sdwa v10, v56, v13 dst_sel:DWORD dst_unused:UNUSED_PAD src0_sel:WORD_1 src1_sel:DWORD
	v_fma_f16 v10, v56, v9, v10
	v_cvt_f32_f16_e32 v10, v10
	v_lshrrev_b32_e32 v8, 2, v8
	s_or_b64 vcc, s[2:3], vcc
	v_addc_co_u32_e32 v8, vcc, 0, v8, vcc
	v_cmp_gt_i32_e32 vcc, 31, v12
	v_cndmask_b32_e32 v8, v2, v8, vcc
	v_cmp_ne_u32_e32 vcc, 0, v6
	v_cvt_f64_f32_e32 v[10:11], v10
	v_cndmask_b32_e64 v6, 0, 1, vcc
	v_lshl_or_b32 v6, v6, 9, v2
	v_cmp_eq_u32_e32 vcc, s16, v12
	v_cndmask_b32_e32 v6, v8, v6, vcc
	v_lshrrev_b32_e32 v7, 16, v7
	v_and_or_b32 v8, v7, s17, v6
	v_mul_f64 v[6:7], v[10:11], s[6:7]
	v_and_b32_e32 v0, 0xffff, v0
	v_add_co_u32_e32 v4, vcc, s4, v4
	v_lshl_or_b32 v0, v8, 16, v0
	v_addc_co_u32_e32 v5, vcc, v5, v3, vcc
	global_store_dword v[4:5], v0, off
	v_and_or_b32 v0, v7, s14, v6
	v_cmp_ne_u32_e32 vcc, 0, v0
	v_cndmask_b32_e64 v0, 0, 1, vcc
	v_lshrrev_b32_e32 v6, 8, v7
	v_bfe_u32 v8, v7, 20, 11
	v_and_or_b32 v0, v6, s15, v0
	v_sub_u32_e32 v10, 0x3f1, v8
	v_or_b32_e32 v6, 0x1000, v0
	v_med3_i32 v10, v10, 0, 13
	v_lshrrev_b32_e32 v11, v10, v6
	v_lshlrev_b32_e32 v10, v10, v11
	v_mul_f16_sdwa v9, v56, v9 dst_sel:DWORD dst_unused:UNUSED_PAD src0_sel:WORD_1 src1_sel:DWORD
	v_cmp_ne_u32_e32 vcc, v10, v6
	v_fma_f16 v9, v56, v13, -v9
	v_cndmask_b32_e64 v6, 0, 1, vcc
	v_add_u32_e32 v10, 0xfffffc10, v8
	v_cvt_f32_f16_e32 v9, v9
	v_or_b32_e32 v6, v11, v6
	v_lshl_or_b32 v8, v10, 12, v0
	v_cmp_gt_i32_e32 vcc, 1, v10
	v_cndmask_b32_e32 v6, v8, v6, vcc
	v_and_b32_e32 v8, 7, v6
	v_cmp_lt_i32_e32 vcc, 5, v8
	v_cmp_eq_u32_e64 s[2:3], 3, v8
	v_cvt_f64_f32_e32 v[8:9], v9
	v_lshrrev_b32_e32 v6, 2, v6
	s_or_b64 vcc, s[2:3], vcc
	v_addc_co_u32_e32 v6, vcc, 0, v6, vcc
	v_mul_f64 v[8:9], v[8:9], s[6:7]
	v_cmp_gt_i32_e32 vcc, 31, v10
	v_cndmask_b32_e32 v6, v2, v6, vcc
	v_cmp_ne_u32_e32 vcc, 0, v0
	v_cndmask_b32_e64 v0, 0, 1, vcc
	v_lshl_or_b32 v0, v0, 9, v2
	v_cmp_eq_u32_e32 vcc, s16, v10
	v_cndmask_b32_e32 v0, v6, v0, vcc
	v_lshrrev_b32_e32 v6, 16, v7
	v_and_or_b32 v0, v6, s17, v0
	v_and_or_b32 v6, v9, s14, v8
	v_cmp_ne_u32_e32 vcc, 0, v6
	v_cndmask_b32_e64 v6, 0, 1, vcc
	v_lshrrev_b32_e32 v7, 8, v9
	v_bfe_u32 v8, v9, 20, 11
	v_and_or_b32 v6, v7, s15, v6
	v_sub_u32_e32 v10, 0x3f1, v8
	v_or_b32_e32 v7, 0x1000, v6
	v_med3_i32 v10, v10, 0, 13
	v_lshrrev_b32_e32 v11, v10, v7
	v_lshlrev_b32_e32 v10, v10, v11
	v_cmp_ne_u32_e32 vcc, v10, v7
	v_cndmask_b32_e64 v7, 0, 1, vcc
	v_add_u32_e32 v8, 0xfffffc10, v8
	v_or_b32_e32 v7, v11, v7
	v_lshl_or_b32 v10, v8, 12, v6
	v_cmp_gt_i32_e32 vcc, 1, v8
	v_cndmask_b32_e32 v7, v10, v7, vcc
	v_and_b32_e32 v10, 7, v7
	v_cmp_lt_i32_e32 vcc, 5, v10
	v_cmp_eq_u32_e64 s[2:3], 3, v10
	ds_read_b32 v10, v53 offset:2912
	ds_read_b32 v12, v53 offset:6916
	v_lshrrev_b32_e32 v7, 2, v7
	s_or_b64 vcc, s[2:3], vcc
	v_addc_co_u32_e32 v7, vcc, 0, v7, vcc
	v_cmp_gt_i32_e32 vcc, 31, v8
	s_waitcnt lgkmcnt(1)
	v_lshrrev_b32_e32 v13, 16, v10
	v_cndmask_b32_e32 v11, v2, v7, vcc
	v_mul_f16_sdwa v7, v55, v13 dst_sel:DWORD dst_unused:UNUSED_PAD src0_sel:WORD_1 src1_sel:DWORD
	v_fma_f16 v7, v55, v10, v7
	v_cvt_f32_f16_e32 v7, v7
	v_cmp_ne_u32_e32 vcc, 0, v6
	v_cndmask_b32_e64 v6, 0, 1, vcc
	v_lshl_or_b32 v14, v6, 9, v2
	v_cvt_f64_f32_e32 v[6:7], v7
	v_cmp_eq_u32_e32 vcc, s16, v8
	v_cndmask_b32_e32 v8, v11, v14, vcc
	v_lshrrev_b32_e32 v9, 16, v9
	v_mul_f64 v[6:7], v[6:7], s[6:7]
	v_and_or_b32 v8, v9, s17, v8
	v_and_b32_e32 v0, 0xffff, v0
	v_add_co_u32_e32 v4, vcc, s10, v4
	v_lshl_or_b32 v0, v8, 16, v0
	v_addc_co_u32_e32 v5, vcc, v5, v1, vcc
	global_store_dword v[4:5], v0, off
	v_and_or_b32 v0, v7, s14, v6
	v_cmp_ne_u32_e32 vcc, 0, v0
	v_cndmask_b32_e64 v0, 0, 1, vcc
	v_lshrrev_b32_e32 v6, 8, v7
	v_bfe_u32 v8, v7, 20, 11
	v_and_or_b32 v0, v6, s15, v0
	v_sub_u32_e32 v9, 0x3f1, v8
	v_or_b32_e32 v6, 0x1000, v0
	v_med3_i32 v9, v9, 0, 13
	v_lshrrev_b32_e32 v11, v9, v6
	v_lshlrev_b32_e32 v9, v9, v11
	v_cmp_ne_u32_e32 vcc, v9, v6
	v_mul_f16_sdwa v9, v55, v10 dst_sel:DWORD dst_unused:UNUSED_PAD src0_sel:WORD_1 src1_sel:DWORD
	v_cndmask_b32_e64 v6, 0, 1, vcc
	v_fma_f16 v9, v55, v13, -v9
	v_or_b32_e32 v6, v11, v6
	v_add_u32_e32 v11, 0xfffffc10, v8
	v_cvt_f32_f16_e32 v9, v9
	v_lshl_or_b32 v8, v11, 12, v0
	v_cmp_gt_i32_e32 vcc, 1, v11
	v_cndmask_b32_e32 v6, v8, v6, vcc
	v_and_b32_e32 v8, 7, v6
	v_cmp_lt_i32_e32 vcc, 5, v8
	v_cmp_eq_u32_e64 s[2:3], 3, v8
	v_cvt_f64_f32_e32 v[8:9], v9
	v_lshrrev_b32_e32 v6, 2, v6
	s_or_b64 vcc, s[2:3], vcc
	v_addc_co_u32_e32 v6, vcc, 0, v6, vcc
	v_mul_f64 v[8:9], v[8:9], s[6:7]
	v_cmp_gt_i32_e32 vcc, 31, v11
	v_cndmask_b32_e32 v6, v2, v6, vcc
	v_cmp_ne_u32_e32 vcc, 0, v0
	v_cndmask_b32_e64 v0, 0, 1, vcc
	v_lshl_or_b32 v0, v0, 9, v2
	v_cmp_eq_u32_e32 vcc, s16, v11
	v_cndmask_b32_e32 v0, v6, v0, vcc
	v_lshrrev_b32_e32 v6, 16, v7
	v_and_or_b32 v0, v6, s17, v0
	v_and_or_b32 v6, v9, s14, v8
	v_cmp_ne_u32_e32 vcc, 0, v6
	v_cndmask_b32_e64 v6, 0, 1, vcc
	v_lshrrev_b32_e32 v7, 8, v9
	v_bfe_u32 v8, v9, 20, 11
	v_and_or_b32 v6, v7, s15, v6
	v_sub_u32_e32 v10, 0x3f1, v8
	v_or_b32_e32 v7, 0x1000, v6
	v_med3_i32 v10, v10, 0, 13
	v_lshrrev_b32_e32 v11, v10, v7
	v_lshlrev_b32_e32 v10, v10, v11
	v_cmp_ne_u32_e32 vcc, v10, v7
	v_cndmask_b32_e64 v7, 0, 1, vcc
	v_add_u32_e32 v8, 0xfffffc10, v8
	v_or_b32_e32 v7, v11, v7
	v_lshl_or_b32 v10, v8, 12, v6
	v_cmp_gt_i32_e32 vcc, 1, v8
	v_cndmask_b32_e32 v7, v10, v7, vcc
	v_and_b32_e32 v10, 7, v7
	v_cmp_lt_i32_e32 vcc, 5, v10
	v_cmp_eq_u32_e64 s[2:3], 3, v10
	v_lshrrev_b32_e32 v7, 2, v7
	s_or_b64 vcc, s[2:3], vcc
	v_addc_co_u32_e32 v7, vcc, 0, v7, vcc
	v_cmp_gt_i32_e32 vcc, 31, v8
	s_waitcnt lgkmcnt(0)
	v_lshrrev_b32_e32 v11, 16, v12
	v_cndmask_b32_e32 v10, v2, v7, vcc
	v_mul_f16_sdwa v7, v54, v11 dst_sel:DWORD dst_unused:UNUSED_PAD src0_sel:WORD_1 src1_sel:DWORD
	v_fma_f16 v7, v54, v12, v7
	v_cvt_f32_f16_e32 v7, v7
	v_cmp_ne_u32_e32 vcc, 0, v6
	v_cndmask_b32_e64 v6, 0, 1, vcc
	v_lshl_or_b32 v13, v6, 9, v2
	v_cvt_f64_f32_e32 v[6:7], v7
	v_cmp_eq_u32_e32 vcc, s16, v8
	v_cndmask_b32_e32 v8, v10, v13, vcc
	v_lshrrev_b32_e32 v9, 16, v9
	v_mul_f64 v[6:7], v[6:7], s[6:7]
	v_and_or_b32 v8, v9, s17, v8
	v_and_b32_e32 v0, 0xffff, v0
	v_add_co_u32_e32 v4, vcc, s4, v4
	v_lshl_or_b32 v0, v8, 16, v0
	v_addc_co_u32_e32 v5, vcc, v5, v3, vcc
	global_store_dword v[4:5], v0, off
	v_and_or_b32 v0, v7, s14, v6
	v_cmp_ne_u32_e32 vcc, 0, v0
	v_cndmask_b32_e64 v0, 0, 1, vcc
	v_lshrrev_b32_e32 v3, 8, v7
	v_bfe_u32 v6, v7, 20, 11
	v_and_or_b32 v0, v3, s15, v0
	v_sub_u32_e32 v8, 0x3f1, v6
	v_or_b32_e32 v3, 0x1000, v0
	v_med3_i32 v8, v8, 0, 13
	v_lshrrev_b32_e32 v9, v8, v3
	v_lshlrev_b32_e32 v8, v8, v9
	v_cmp_ne_u32_e32 vcc, v8, v3
	v_cndmask_b32_e64 v3, 0, 1, vcc
	v_or_b32_e32 v3, v9, v3
	v_mul_f16_sdwa v9, v54, v12 dst_sel:DWORD dst_unused:UNUSED_PAD src0_sel:WORD_1 src1_sel:DWORD
	v_fma_f16 v9, v54, v11, -v9
	v_add_u32_e32 v6, 0xfffffc10, v6
	v_cvt_f32_f16_e32 v9, v9
	v_lshl_or_b32 v8, v6, 12, v0
	v_cmp_gt_i32_e32 vcc, 1, v6
	v_cndmask_b32_e32 v3, v8, v3, vcc
	v_and_b32_e32 v8, 7, v3
	v_cmp_lt_i32_e32 vcc, 5, v8
	v_cmp_eq_u32_e64 s[2:3], 3, v8
	v_cvt_f64_f32_e32 v[8:9], v9
	v_lshrrev_b32_e32 v3, 2, v3
	s_or_b64 vcc, s[2:3], vcc
	v_addc_co_u32_e32 v3, vcc, 0, v3, vcc
	v_mul_f64 v[8:9], v[8:9], s[6:7]
	v_cmp_gt_i32_e32 vcc, 31, v6
	v_cndmask_b32_e32 v3, v2, v3, vcc
	v_cmp_ne_u32_e32 vcc, 0, v0
	v_cndmask_b32_e64 v0, 0, 1, vcc
	v_lshl_or_b32 v0, v0, 9, v2
	v_cmp_eq_u32_e32 vcc, s16, v6
	v_cndmask_b32_e32 v0, v3, v0, vcc
	v_lshrrev_b32_e32 v3, 16, v7
	v_and_or_b32 v0, v3, s17, v0
	v_and_or_b32 v3, v9, s14, v8
	v_cmp_ne_u32_e32 vcc, 0, v3
	v_cndmask_b32_e64 v3, 0, 1, vcc
	v_lshrrev_b32_e32 v6, 8, v9
	v_bfe_u32 v7, v9, 20, 11
	v_and_or_b32 v3, v6, s15, v3
	v_sub_u32_e32 v8, 0x3f1, v7
	v_or_b32_e32 v6, 0x1000, v3
	v_med3_i32 v8, v8, 0, 13
	v_lshrrev_b32_e32 v10, v8, v6
	v_lshlrev_b32_e32 v8, v8, v10
	v_cmp_ne_u32_e32 vcc, v8, v6
	v_cndmask_b32_e64 v6, 0, 1, vcc
	v_add_u32_e32 v7, 0xfffffc10, v7
	v_or_b32_e32 v6, v10, v6
	v_lshl_or_b32 v8, v7, 12, v3
	v_cmp_gt_i32_e32 vcc, 1, v7
	v_cndmask_b32_e32 v6, v8, v6, vcc
	v_and_b32_e32 v8, 7, v6
	v_cmp_lt_i32_e32 vcc, 5, v8
	v_cmp_eq_u32_e64 s[2:3], 3, v8
	v_lshrrev_b32_e32 v6, 2, v6
	s_or_b64 vcc, s[2:3], vcc
	v_addc_co_u32_e32 v6, vcc, 0, v6, vcc
	v_cmp_gt_i32_e32 vcc, 31, v7
	v_cndmask_b32_e32 v6, v2, v6, vcc
	v_cmp_ne_u32_e32 vcc, 0, v3
	v_cndmask_b32_e64 v3, 0, 1, vcc
	v_lshl_or_b32 v3, v3, 9, v2
	v_cmp_eq_u32_e32 vcc, s16, v7
	v_cndmask_b32_e32 v3, v6, v3, vcc
	v_lshrrev_b32_e32 v6, 16, v9
	v_and_or_b32 v3, v6, s17, v3
	v_and_b32_e32 v0, 0xffff, v0
	v_lshl_or_b32 v3, v3, 16, v0
	v_add_co_u32_e32 v0, vcc, s10, v4
	v_addc_co_u32_e32 v1, vcc, v5, v1, vcc
	global_store_dword v[0:1], v3, off
	s_and_b64 exec, exec, s[0:1]
	s_cbranch_execz .LBB0_31
; %bb.30:
	global_load_dword v5, v[28:29], off offset:3640
	v_add_co_u32_e32 v3, vcc, s18, v28
	v_addc_co_u32_e32 v4, vcc, 0, v29, vcc
	global_load_dword v9, v[3:4], off offset:3548
	ds_read_b32 v3, v53 offset:3640
	ds_read_b32 v10, v53 offset:7644
	v_mov_b32_e32 v12, s5
	v_add_co_u32_e32 v0, vcc, s4, v0
	s_waitcnt lgkmcnt(1)
	v_lshrrev_b32_e32 v4, 16, v3
	s_waitcnt lgkmcnt(0)
	v_lshrrev_b32_e32 v11, 16, v10
	v_addc_co_u32_e32 v1, vcc, v1, v12, vcc
	s_waitcnt vmcnt(1)
	v_mul_f16_sdwa v6, v4, v5 dst_sel:DWORD dst_unused:UNUSED_PAD src0_sel:DWORD src1_sel:WORD_1
	v_mul_f16_sdwa v7, v3, v5 dst_sel:DWORD dst_unused:UNUSED_PAD src0_sel:DWORD src1_sel:WORD_1
	v_fma_f16 v3, v3, v5, v6
	v_fma_f16 v4, v5, v4, -v7
	v_cvt_f32_f16_e32 v3, v3
	s_waitcnt vmcnt(0)
	v_mul_f16_sdwa v5, v11, v9 dst_sel:DWORD dst_unused:UNUSED_PAD src0_sel:DWORD src1_sel:WORD_1
	v_cvt_f32_f16_e32 v6, v4
	v_fma_f16 v5, v10, v9, v5
	v_cvt_f32_f16_e32 v7, v5
	v_cvt_f64_f32_e32 v[3:4], v3
	v_cvt_f64_f32_e32 v[5:6], v6
	;; [unrolled: 1-line block ×3, first 2 shown]
	v_mul_f64 v[3:4], v[3:4], s[6:7]
	v_mul_f64 v[5:6], v[5:6], s[6:7]
	;; [unrolled: 1-line block ×3, first 2 shown]
	v_and_or_b32 v3, v4, s14, v3
	v_and_or_b32 v5, v6, s14, v5
	v_cmp_ne_u32_e32 vcc, 0, v3
	v_lshrrev_b32_e32 v12, 8, v4
	v_bfe_u32 v13, v4, 20, 11
	v_bfe_u32 v15, v6, 20, 11
	v_cndmask_b32_e64 v3, 0, 1, vcc
	v_cmp_ne_u32_e32 vcc, 0, v5
	v_and_or_b32 v7, v8, s14, v7
	v_lshrrev_b32_e32 v14, 8, v6
	v_sub_u32_e32 v16, 0x3f1, v13
	v_cndmask_b32_e64 v5, 0, 1, vcc
	v_sub_u32_e32 v17, 0x3f1, v15
	v_bfe_u32 v19, v8, 20, 11
	v_and_or_b32 v3, v12, s15, v3
	v_cmp_ne_u32_e32 vcc, 0, v7
	v_lshrrev_b32_e32 v18, 8, v8
	v_med3_i32 v12, v16, 0, 13
	v_and_or_b32 v5, v14, s15, v5
	v_med3_i32 v14, v17, 0, 13
	v_cndmask_b32_e64 v7, 0, 1, vcc
	v_sub_u32_e32 v16, 0x3f1, v19
	v_add_u32_e32 v17, 0xfffffc10, v19
	v_or_b32_e32 v19, 0x1000, v3
	v_add_u32_e32 v13, 0xfffffc10, v13
	v_cmp_ne_u32_e32 vcc, 0, v3
	v_or_b32_e32 v21, 0x1000, v5
	v_and_or_b32 v7, v18, s15, v7
	v_lshrrev_b32_e32 v18, v12, v19
	v_add_u32_e32 v15, 0xfffffc10, v15
	v_lshl_or_b32 v20, v13, 12, v3
	v_cndmask_b32_e64 v3, 0, 1, vcc
	v_cmp_ne_u32_e32 vcc, 0, v5
	v_med3_i32 v16, v16, 0, 13
	v_lshrrev_b32_e32 v23, v14, v21
	v_or_b32_e32 v24, 0x1000, v7
	v_lshlrev_b32_e32 v12, v12, v18
	v_lshl_or_b32 v22, v15, 12, v5
	v_cndmask_b32_e64 v5, 0, 1, vcc
	v_lshlrev_b32_e32 v14, v14, v23
	v_lshrrev_b32_e32 v25, v16, v24
	v_cmp_ne_u32_e32 vcc, v12, v19
	v_cndmask_b32_e64 v12, 0, 1, vcc
	v_cmp_ne_u32_e32 vcc, v14, v21
	v_lshlrev_b32_e32 v16, v16, v25
	v_cndmask_b32_e64 v14, 0, 1, vcc
	v_cmp_ne_u32_e32 vcc, v16, v24
	v_or_b32_e32 v12, v18, v12
	v_cndmask_b32_e64 v16, 0, 1, vcc
	v_cmp_gt_i32_e32 vcc, 1, v13
	v_cndmask_b32_e32 v12, v20, v12, vcc
	v_or_b32_e32 v14, v23, v14
	v_cmp_gt_i32_e32 vcc, 1, v15
	v_and_b32_e32 v18, 7, v12
	v_cndmask_b32_e32 v14, v22, v14, vcc
	v_cmp_lt_i32_e32 vcc, 5, v18
	v_cmp_eq_u32_e64 s[0:1], 3, v18
	v_lshrrev_b32_e32 v12, 2, v12
	v_and_b32_e32 v19, 7, v14
	s_or_b64 vcc, s[0:1], vcc
	v_cmp_lt_i32_e64 s[2:3], 5, v19
	v_cmp_eq_u32_e64 s[4:5], 3, v19
	v_addc_co_u32_e32 v12, vcc, 0, v12, vcc
	v_lshrrev_b32_e32 v14, 2, v14
	s_or_b64 vcc, s[4:5], s[2:3]
	v_addc_co_u32_e32 v14, vcc, 0, v14, vcc
	v_cmp_gt_i32_e32 vcc, 31, v13
	v_cndmask_b32_e32 v12, v2, v12, vcc
	v_cmp_gt_i32_e32 vcc, 31, v15
	v_lshl_or_b32 v3, v3, 9, v2
	v_cndmask_b32_e32 v14, v2, v14, vcc
	v_cmp_eq_u32_e32 vcc, s16, v13
	v_lshl_or_b32 v5, v5, 9, v2
	v_cndmask_b32_e32 v3, v12, v3, vcc
	v_cmp_eq_u32_e32 vcc, s16, v15
	v_lshrrev_b32_e32 v4, 16, v4
	v_lshrrev_b32_e32 v6, 16, v6
	v_cndmask_b32_e32 v5, v14, v5, vcc
	v_and_or_b32 v3, v4, s17, v3
	v_and_or_b32 v4, v6, s17, v5
	v_mul_f16_sdwa v5, v10, v9 dst_sel:DWORD dst_unused:UNUSED_PAD src0_sel:DWORD src1_sel:WORD_1
	v_and_b32_e32 v3, 0xffff, v3
	v_fma_f16 v5, v9, v11, -v5
	v_lshl_or_b32 v3, v4, 16, v3
	v_cvt_f32_f16_e32 v5, v5
	v_or_b32_e32 v16, v25, v16
	global_store_dword v[0:1], v3, off
	v_lshl_or_b32 v3, v17, 12, v7
	v_cmp_gt_i32_e32 vcc, 1, v17
	v_cndmask_b32_e32 v3, v3, v16, vcc
	v_and_b32_e32 v4, 7, v3
	v_cmp_lt_i32_e32 vcc, 5, v4
	v_cmp_eq_u32_e64 s[0:1], 3, v4
	v_lshrrev_b32_e32 v6, 2, v3
	v_cvt_f64_f32_e32 v[3:4], v5
	s_or_b64 vcc, s[0:1], vcc
	v_addc_co_u32_e32 v5, vcc, 0, v6, vcc
	v_mul_f64 v[3:4], v[3:4], s[6:7]
	v_cmp_gt_i32_e32 vcc, 31, v17
	v_cndmask_b32_e32 v5, v2, v5, vcc
	v_cmp_ne_u32_e32 vcc, 0, v7
	v_cndmask_b32_e64 v6, 0, 1, vcc
	v_lshl_or_b32 v6, v6, 9, v2
	v_cmp_eq_u32_e32 vcc, s16, v17
	v_cndmask_b32_e32 v5, v5, v6, vcc
	v_and_or_b32 v3, v4, s14, v3
	v_lshrrev_b32_e32 v6, 16, v8
	v_cmp_ne_u32_e32 vcc, 0, v3
	v_and_or_b32 v5, v6, s17, v5
	v_cndmask_b32_e64 v3, 0, 1, vcc
	v_lshrrev_b32_e32 v6, 8, v4
	v_bfe_u32 v7, v4, 20, 11
	v_and_or_b32 v3, v6, s15, v3
	v_sub_u32_e32 v8, 0x3f1, v7
	v_or_b32_e32 v6, 0x1000, v3
	v_med3_i32 v8, v8, 0, 13
	v_lshrrev_b32_e32 v9, v8, v6
	v_lshlrev_b32_e32 v8, v8, v9
	v_cmp_ne_u32_e32 vcc, v8, v6
	v_cndmask_b32_e64 v6, 0, 1, vcc
	v_add_u32_e32 v7, 0xfffffc10, v7
	v_or_b32_e32 v6, v9, v6
	v_lshl_or_b32 v8, v7, 12, v3
	v_cmp_gt_i32_e32 vcc, 1, v7
	v_cndmask_b32_e32 v6, v8, v6, vcc
	v_and_b32_e32 v8, 7, v6
	v_cmp_lt_i32_e32 vcc, 5, v8
	v_cmp_eq_u32_e64 s[0:1], 3, v8
	v_lshrrev_b32_e32 v6, 2, v6
	s_or_b64 vcc, s[0:1], vcc
	v_addc_co_u32_e32 v6, vcc, 0, v6, vcc
	v_cmp_gt_i32_e32 vcc, 31, v7
	v_cndmask_b32_e32 v6, v2, v6, vcc
	v_cmp_ne_u32_e32 vcc, 0, v3
	v_cndmask_b32_e64 v3, 0, 1, vcc
	v_lshl_or_b32 v2, v3, 9, v2
	v_cmp_eq_u32_e32 vcc, s16, v7
	v_cndmask_b32_e32 v2, v6, v2, vcc
	v_lshrrev_b32_e32 v3, 16, v4
	v_and_or_b32 v2, v3, s17, v2
	v_and_b32_e32 v3, 0xffff, v5
	v_lshl_or_b32 v2, v2, 16, v3
	v_mov_b32_e32 v3, s11
	v_add_co_u32_e32 v0, vcc, s10, v0
	v_addc_co_u32_e32 v1, vcc, v1, v3, vcc
	global_store_dword v[0:1], v2, off
.LBB0_31:
	s_endpgm
	.section	.rodata,"a",@progbits
	.p2align	6, 0x0
	.amdhsa_kernel bluestein_single_back_len2002_dim1_half_op_CI_CI
		.amdhsa_group_segment_fixed_size 8008
		.amdhsa_private_segment_fixed_size 0
		.amdhsa_kernarg_size 104
		.amdhsa_user_sgpr_count 6
		.amdhsa_user_sgpr_private_segment_buffer 1
		.amdhsa_user_sgpr_dispatch_ptr 0
		.amdhsa_user_sgpr_queue_ptr 0
		.amdhsa_user_sgpr_kernarg_segment_ptr 1
		.amdhsa_user_sgpr_dispatch_id 0
		.amdhsa_user_sgpr_flat_scratch_init 0
		.amdhsa_user_sgpr_private_segment_size 0
		.amdhsa_uses_dynamic_stack 0
		.amdhsa_system_sgpr_private_segment_wavefront_offset 0
		.amdhsa_system_sgpr_workgroup_id_x 1
		.amdhsa_system_sgpr_workgroup_id_y 0
		.amdhsa_system_sgpr_workgroup_id_z 0
		.amdhsa_system_sgpr_workgroup_info 0
		.amdhsa_system_vgpr_workitem_id 0
		.amdhsa_next_free_vgpr 226
		.amdhsa_next_free_sgpr 27
		.amdhsa_reserve_vcc 1
		.amdhsa_reserve_flat_scratch 0
		.amdhsa_float_round_mode_32 0
		.amdhsa_float_round_mode_16_64 0
		.amdhsa_float_denorm_mode_32 3
		.amdhsa_float_denorm_mode_16_64 3
		.amdhsa_dx10_clamp 1
		.amdhsa_ieee_mode 1
		.amdhsa_fp16_overflow 0
		.amdhsa_exception_fp_ieee_invalid_op 0
		.amdhsa_exception_fp_denorm_src 0
		.amdhsa_exception_fp_ieee_div_zero 0
		.amdhsa_exception_fp_ieee_overflow 0
		.amdhsa_exception_fp_ieee_underflow 0
		.amdhsa_exception_fp_ieee_inexact 0
		.amdhsa_exception_int_div_zero 0
	.end_amdhsa_kernel
	.text
.Lfunc_end0:
	.size	bluestein_single_back_len2002_dim1_half_op_CI_CI, .Lfunc_end0-bluestein_single_back_len2002_dim1_half_op_CI_CI
                                        ; -- End function
	.section	.AMDGPU.csdata,"",@progbits
; Kernel info:
; codeLenInByte = 24952
; NumSgprs: 31
; NumVgprs: 226
; ScratchSize: 0
; MemoryBound: 0
; FloatMode: 240
; IeeeMode: 1
; LDSByteSize: 8008 bytes/workgroup (compile time only)
; SGPRBlocks: 3
; VGPRBlocks: 56
; NumSGPRsForWavesPerEU: 31
; NumVGPRsForWavesPerEU: 226
; Occupancy: 1
; WaveLimiterHint : 1
; COMPUTE_PGM_RSRC2:SCRATCH_EN: 0
; COMPUTE_PGM_RSRC2:USER_SGPR: 6
; COMPUTE_PGM_RSRC2:TRAP_HANDLER: 0
; COMPUTE_PGM_RSRC2:TGID_X_EN: 1
; COMPUTE_PGM_RSRC2:TGID_Y_EN: 0
; COMPUTE_PGM_RSRC2:TGID_Z_EN: 0
; COMPUTE_PGM_RSRC2:TIDIG_COMP_CNT: 0
	.type	__hip_cuid_8136a175f596318e,@object ; @__hip_cuid_8136a175f596318e
	.section	.bss,"aw",@nobits
	.globl	__hip_cuid_8136a175f596318e
__hip_cuid_8136a175f596318e:
	.byte	0                               ; 0x0
	.size	__hip_cuid_8136a175f596318e, 1

	.ident	"AMD clang version 19.0.0git (https://github.com/RadeonOpenCompute/llvm-project roc-6.4.0 25133 c7fe45cf4b819c5991fe208aaa96edf142730f1d)"
	.section	".note.GNU-stack","",@progbits
	.addrsig
	.addrsig_sym __hip_cuid_8136a175f596318e
	.amdgpu_metadata
---
amdhsa.kernels:
  - .args:
      - .actual_access:  read_only
        .address_space:  global
        .offset:         0
        .size:           8
        .value_kind:     global_buffer
      - .actual_access:  read_only
        .address_space:  global
        .offset:         8
        .size:           8
        .value_kind:     global_buffer
      - .actual_access:  read_only
        .address_space:  global
        .offset:         16
        .size:           8
        .value_kind:     global_buffer
      - .actual_access:  read_only
        .address_space:  global
        .offset:         24
        .size:           8
        .value_kind:     global_buffer
      - .actual_access:  read_only
        .address_space:  global
        .offset:         32
        .size:           8
        .value_kind:     global_buffer
      - .offset:         40
        .size:           8
        .value_kind:     by_value
      - .address_space:  global
        .offset:         48
        .size:           8
        .value_kind:     global_buffer
      - .address_space:  global
        .offset:         56
        .size:           8
        .value_kind:     global_buffer
      - .address_space:  global
        .offset:         64
        .size:           8
        .value_kind:     global_buffer
      - .address_space:  global
        .offset:         72
        .size:           8
        .value_kind:     global_buffer
      - .offset:         80
        .size:           4
        .value_kind:     by_value
      - .address_space:  global
        .offset:         88
        .size:           8
        .value_kind:     global_buffer
      - .address_space:  global
        .offset:         96
        .size:           8
        .value_kind:     global_buffer
    .group_segment_fixed_size: 8008
    .kernarg_segment_align: 8
    .kernarg_segment_size: 104
    .language:       OpenCL C
    .language_version:
      - 2
      - 0
    .max_flat_workgroup_size: 182
    .name:           bluestein_single_back_len2002_dim1_half_op_CI_CI
    .private_segment_fixed_size: 0
    .sgpr_count:     31
    .sgpr_spill_count: 0
    .symbol:         bluestein_single_back_len2002_dim1_half_op_CI_CI.kd
    .uniform_work_group_size: 1
    .uses_dynamic_stack: false
    .vgpr_count:     226
    .vgpr_spill_count: 0
    .wavefront_size: 64
amdhsa.target:   amdgcn-amd-amdhsa--gfx906
amdhsa.version:
  - 1
  - 2
...

	.end_amdgpu_metadata
